;; amdgpu-corpus repo=ROCm/rocFFT kind=compiled arch=gfx950 opt=O3
	.text
	.amdgcn_target "amdgcn-amd-amdhsa--gfx950"
	.amdhsa_code_object_version 6
	.protected	bluestein_single_back_len550_dim1_sp_op_CI_CI ; -- Begin function bluestein_single_back_len550_dim1_sp_op_CI_CI
	.globl	bluestein_single_back_len550_dim1_sp_op_CI_CI
	.p2align	8
	.type	bluestein_single_back_len550_dim1_sp_op_CI_CI,@function
bluestein_single_back_len550_dim1_sp_op_CI_CI: ; @bluestein_single_back_len550_dim1_sp_op_CI_CI
; %bb.0:
	s_load_dwordx4 s[8:11], s[0:1], 0x28
	v_mul_u32_u24_e32 v1, 0x4a8, v0
	v_add_u32_sdwa v54, s2, v1 dst_sel:DWORD dst_unused:UNUSED_PAD src0_sel:DWORD src1_sel:WORD_1
	v_mov_b32_e32 v55, 0
	s_waitcnt lgkmcnt(0)
	v_cmp_gt_u64_e32 vcc, s[8:9], v[54:55]
	s_and_saveexec_b64 s[2:3], vcc
	s_cbranch_execz .LBB0_15
; %bb.1:
	s_load_dwordx2 s[8:9], s[0:1], 0x0
	s_load_dwordx2 s[12:13], s[0:1], 0x38
	v_mov_b32_e32 v2, 55
	v_mul_lo_u16_sdwa v1, v1, v2 dst_sel:DWORD dst_unused:UNUSED_PAD src0_sel:WORD_1 src1_sel:DWORD
	v_sub_u16_e32 v55, v0, v1
	v_cmp_gt_u16_e64 s[2:3], 50, v55
	v_lshlrev_b32_e32 v52, 3, v55
	s_and_saveexec_b64 s[14:15], s[2:3]
	s_cbranch_execz .LBB0_3
; %bb.2:
	s_load_dwordx2 s[4:5], s[0:1], 0x18
	v_mov_b32_e32 v0, s10
	v_mov_b32_e32 v1, s11
	;; [unrolled: 1-line block ×3, first 2 shown]
	v_add_u32_e32 v46, 0x800, v52
	s_waitcnt lgkmcnt(0)
	s_load_dwordx4 s[4:7], s[4:5], 0x0
	s_waitcnt lgkmcnt(0)
	v_mad_u64_u32 v[2:3], s[10:11], s6, v54, 0
	v_mad_u64_u32 v[4:5], s[10:11], s4, v55, 0
	v_mov_b32_e32 v6, v3
	v_mov_b32_e32 v8, v5
	v_mad_u64_u32 v[6:7], s[6:7], s7, v54, v[6:7]
	v_mov_b32_e32 v3, v6
	v_mad_u64_u32 v[6:7], s[6:7], s5, v55, v[8:9]
	v_mov_b32_e32 v5, v6
	v_lshl_add_u64 v[0:1], v[2:3], 3, v[0:1]
	v_lshl_add_u64 v[0:1], v[4:5], 3, v[0:1]
	global_load_dwordx2 v[2:3], v[0:1], off
	v_mad_u64_u32 v[0:1], s[6:7], s4, v42, v[0:1]
	s_mul_i32 s10, s5, 0x190
	v_add_u32_e32 v1, s10, v1
	global_load_dwordx2 v[4:5], v[0:1], off
	global_load_dwordx2 v[6:7], v52, s[8:9]
	v_mad_u64_u32 v[0:1], s[6:7], s4, v42, v[0:1]
	v_add_u32_e32 v1, s10, v1
	v_mad_u64_u32 v[10:11], s[6:7], s4, v42, v[0:1]
	v_add_u32_e32 v11, s10, v11
	global_load_dwordx2 v[8:9], v52, s[8:9] offset:400
	global_load_dwordx2 v[12:13], v52, s[8:9] offset:800
	;; [unrolled: 1-line block ×3, first 2 shown]
	global_load_dwordx2 v[16:17], v[0:1], off
	v_mad_u64_u32 v[0:1], s[6:7], s4, v42, v[10:11]
	v_add_u32_e32 v1, s10, v1
	global_load_dwordx2 v[18:19], v[10:11], off
	global_load_dwordx2 v[20:21], v[0:1], off
	v_mad_u64_u32 v[0:1], s[6:7], s4, v42, v[0:1]
	v_add_u32_e32 v1, s10, v1
	global_load_dwordx2 v[10:11], v52, s[8:9] offset:1600
	global_load_dwordx2 v[22:23], v[0:1], off
	v_mad_u64_u32 v[0:1], s[6:7], s4, v42, v[0:1]
	v_add_u32_e32 v1, s10, v1
	global_load_dwordx2 v[26:27], v[0:1], off
	v_mad_u64_u32 v[0:1], s[6:7], s4, v42, v[0:1]
	v_add_u32_e32 v1, s10, v1
	global_load_dwordx2 v[24:25], v52, s[8:9] offset:2000
	global_load_dwordx2 v[28:29], v52, s[8:9] offset:2400
	global_load_dwordx2 v[30:31], v[0:1], off
	global_load_dwordx2 v[32:33], v52, s[8:9] offset:2800
	v_mad_u64_u32 v[0:1], s[6:7], s4, v42, v[0:1]
	v_add_u32_e32 v1, s10, v1
	global_load_dwordx2 v[34:35], v[0:1], off
	global_load_dwordx2 v[36:37], v52, s[8:9] offset:3200
	v_mad_u64_u32 v[0:1], s[6:7], s4, v42, v[0:1]
	v_add_u32_e32 v1, s10, v1
	;; [unrolled: 4-line block ×3, first 2 shown]
	global_load_dwordx2 v[42:43], v52, s[8:9] offset:4000
	global_load_dwordx2 v[44:45], v[0:1], off
	s_waitcnt vmcnt(19)
	v_mul_f32_e32 v0, v3, v7
	v_mul_f32_e32 v1, v2, v7
	v_fmac_f32_e32 v0, v2, v6
	v_fma_f32 v1, v3, v6, -v1
	s_waitcnt vmcnt(18)
	v_mul_f32_e32 v2, v5, v9
	v_mul_f32_e32 v3, v4, v9
	v_fmac_f32_e32 v2, v4, v8
	v_fma_f32 v3, v5, v8, -v3
	ds_write2_b64 v52, v[0:1], v[2:3] offset1:50
	s_waitcnt vmcnt(15)
	v_mul_f32_e32 v0, v17, v13
	v_mul_f32_e32 v1, v16, v13
	s_waitcnt vmcnt(14)
	v_mul_f32_e32 v2, v19, v15
	v_mul_f32_e32 v3, v18, v15
	v_fmac_f32_e32 v0, v16, v12
	v_fma_f32 v1, v17, v12, -v1
	v_fmac_f32_e32 v2, v18, v14
	v_fma_f32 v3, v19, v14, -v3
	ds_write2_b64 v52, v[0:1], v[2:3] offset0:100 offset1:150
	s_waitcnt vmcnt(12)
	v_mul_f32_e32 v0, v21, v11
	v_mul_f32_e32 v1, v20, v11
	v_fmac_f32_e32 v0, v20, v10
	s_waitcnt vmcnt(9)
	v_mul_f32_e32 v2, v23, v25
	v_mul_f32_e32 v3, v22, v25
	v_fma_f32 v1, v21, v10, -v1
	v_fmac_f32_e32 v2, v22, v24
	v_fma_f32 v3, v23, v24, -v3
	ds_write2_b64 v52, v[0:1], v[2:3] offset0:200 offset1:250
	s_waitcnt vmcnt(8)
	v_mul_f32_e32 v0, v27, v29
	v_mul_f32_e32 v1, v26, v29
	s_waitcnt vmcnt(6)
	v_mul_f32_e32 v2, v31, v33
	v_mul_f32_e32 v3, v30, v33
	v_fmac_f32_e32 v0, v26, v28
	v_fma_f32 v1, v27, v28, -v1
	v_fmac_f32_e32 v2, v30, v32
	v_fma_f32 v3, v31, v32, -v3
	ds_write2_b64 v46, v[0:1], v[2:3] offset0:44 offset1:94
	s_waitcnt vmcnt(4)
	v_mul_f32_e32 v0, v35, v37
	v_mul_f32_e32 v1, v34, v37
	s_waitcnt vmcnt(2)
	v_mul_f32_e32 v2, v39, v41
	v_mul_f32_e32 v3, v38, v41
	v_fmac_f32_e32 v0, v34, v36
	v_fma_f32 v1, v35, v36, -v1
	v_fmac_f32_e32 v2, v38, v40
	v_fma_f32 v3, v39, v40, -v3
	ds_write2_b64 v46, v[0:1], v[2:3] offset0:144 offset1:194
	s_waitcnt vmcnt(0)
	v_mul_f32_e32 v0, v45, v43
	v_mul_f32_e32 v1, v44, v43
	v_fmac_f32_e32 v0, v44, v42
	v_fma_f32 v1, v45, v42, -v1
	ds_write_b64 v52, v[0:1] offset:4000
.LBB0_3:
	s_or_b64 exec, exec, s[14:15]
	s_load_dwordx2 s[4:5], s[0:1], 0x20
	s_load_dwordx2 s[10:11], s[0:1], 0x8
	v_mov_b64_e32 v[0:1], 0
	s_waitcnt lgkmcnt(0)
	; wave barrier
	s_waitcnt lgkmcnt(0)
                                        ; implicit-def: $vgpr4
                                        ; implicit-def: $vgpr10
                                        ; implicit-def: $vgpr16
                                        ; implicit-def: $vgpr14
                                        ; implicit-def: $vgpr40
	s_and_saveexec_b64 s[0:1], s[2:3]
	s_cbranch_execz .LBB0_5
; %bb.4:
	v_add_u32_e32 v16, 0x800, v52
	ds_read2_b64 v[0:3], v52 offset1:50
	ds_read2_b64 v[12:15], v52 offset0:100 offset1:150
	ds_read2_b64 v[8:11], v52 offset0:200 offset1:250
	;; [unrolled: 1-line block ×4, first 2 shown]
	ds_read_b64 v[40:41], v52 offset:4000
.LBB0_5:
	s_or_b64 exec, exec, s[0:1]
	s_waitcnt lgkmcnt(0)
	v_pk_add_f32 v[34:35], v[2:3], v[40:41] neg_lo:[0,1] neg_hi:[0,1]
	s_mov_b32 s24, 0xbf0a6770
	v_pk_add_f32 v[32:33], v[40:41], v[2:3]
	v_pk_add_f32 v[30:31], v[12:13], v[18:19] neg_lo:[0,1] neg_hi:[0,1]
	s_mov_b32 s16, 0x3f575c64
	v_pk_mul_f32 v[36:37], v[34:35], s[24:25] op_sel_hi:[1,0]
	s_mov_b32 s30, 0xbf68dda4
	v_pk_add_f32 v[28:29], v[18:19], v[12:13]
	v_pk_fma_f32 v[42:43], v[32:33], s[16:17], v[36:37] op_sel:[0,0,1] op_sel_hi:[1,0,0]
	v_pk_fma_f32 v[44:45], v[32:33], s[16:17], v[36:37] op_sel:[0,0,1] op_sel_hi:[1,0,0] neg_lo:[0,0,1] neg_hi:[0,0,1]
	s_mov_b32 s6, 0x3ed4b147
	v_pk_mul_f32 v[38:39], v[30:31], s[30:31] op_sel_hi:[1,0]
	v_mov_b32_e32 v36, v42
	v_mov_b32_e32 v37, v45
	v_pk_fma_f32 v[46:47], v[28:29], s[6:7], v[38:39] op_sel:[0,0,1] op_sel_hi:[1,0,0]
	v_pk_fma_f32 v[48:49], v[28:29], s[6:7], v[38:39] op_sel:[0,0,1] op_sel_hi:[1,0,0] neg_lo:[0,0,1] neg_hi:[0,0,1]
	v_pk_add_f32 v[26:27], v[14:15], v[16:17] neg_lo:[0,1] neg_hi:[0,1]
	v_pk_add_f32 v[36:37], v[36:37], v[0:1]
	v_mov_b32_e32 v38, v46
	v_mov_b32_e32 v39, v49
	s_mov_b32 s18, 0xbf7d64f0
	v_pk_add_f32 v[24:25], v[16:17], v[14:15]
	v_pk_add_f32 v[36:37], v[38:39], v[36:37]
	s_mov_b32 s14, 0xbe11bafb
	v_pk_mul_f32 v[38:39], v[26:27], s[18:19] op_sel_hi:[1,0]
	v_pk_add_f32 v[22:23], v[8:9], v[6:7] neg_lo:[0,1] neg_hi:[0,1]
	v_pk_fma_f32 v[50:51], v[24:25], s[14:15], v[38:39] op_sel:[0,0,1] op_sel_hi:[1,0,0]
	v_pk_fma_f32 v[56:57], v[24:25], s[14:15], v[38:39] op_sel:[0,0,1] op_sel_hi:[1,0,0] neg_lo:[0,0,1] neg_hi:[0,0,1]
	v_mov_b32_e32 v38, v50
	v_mov_b32_e32 v39, v57
	s_mov_b32 s22, 0xbf4178ce
	v_pk_add_f32 v[20:21], v[6:7], v[8:9]
	v_pk_add_f32 v[36:37], v[38:39], v[36:37]
	s_mov_b32 s20, 0xbf27a4f4
	v_pk_mul_f32 v[38:39], v[22:23], s[22:23] op_sel_hi:[1,0]
	s_mov_b32 s28, 0xbe903f40
	v_pk_fma_f32 v[60:61], v[20:21], s[20:21], v[38:39] op_sel:[0,0,1] op_sel_hi:[1,0,0]
	v_pk_fma_f32 v[62:63], v[20:21], s[20:21], v[38:39] op_sel:[0,0,1] op_sel_hi:[1,0,0] neg_lo:[0,0,1] neg_hi:[0,0,1]
	v_mov_b32_e32 v38, v60
	v_mov_b32_e32 v39, v63
	v_pk_add_f32 v[58:59], v[38:39], v[36:37]
	v_pk_add_f32 v[38:39], v[10:11], v[4:5] neg_lo:[0,1] neg_hi:[0,1]
	v_pk_add_f32 v[36:37], v[4:5], v[10:11]
	s_mov_b32 s26, 0xbf75a155
	v_pk_mul_f32 v[66:67], v[38:39], s[28:29] op_sel_hi:[1,0]
	v_mul_lo_u16_e32 v94, 11, v55
	v_pk_fma_f32 v[64:65], v[36:37], s[26:27], v[66:67] op_sel:[0,0,1] op_sel_hi:[1,0,0]
	v_pk_fma_f32 v[66:67], v[36:37], s[26:27], v[66:67] op_sel:[0,0,1] op_sel_hi:[1,0,0] neg_lo:[0,0,1] neg_hi:[0,0,1]
	v_mov_b32_e32 v68, v64
	v_mov_b32_e32 v69, v67
	v_pk_add_f32 v[58:59], v[68:69], v[58:59]
	s_waitcnt lgkmcnt(0)
	; wave barrier
	s_and_saveexec_b64 s[0:1], s[2:3]
	s_cbranch_execz .LBB0_7
; %bb.6:
	v_pk_add_f32 v[2:3], v[2:3], v[0:1]
	v_mov_b32_e32 v45, v43
	v_pk_add_f32 v[2:3], v[12:13], v[2:3]
	v_mov_b32_e32 v49, v47
	;; [unrolled: 2-line block ×5, first 2 shown]
	v_pk_add_f32 v[2:3], v[4:5], v[2:3]
	v_pk_add_f32 v[4:5], v[44:45], v[0:1]
	;; [unrolled: 1-line block ×8, first 2 shown]
	v_lshlrev_b32_e32 v53, 3, v94
	v_pk_add_f32 v[2:3], v[40:41], v[2:3]
	v_pk_add_f32 v[4:5], v[66:67], v[4:5]
	ds_write2_b64 v53, v[2:3], v[4:5] offset1:1
	v_pk_mul_f32 v[2:3], v[34:35], s[30:31] op_sel_hi:[1,0]
	v_pk_mul_f32 v[8:9], v[30:31], s[22:23] op_sel_hi:[1,0]
	v_pk_fma_f32 v[4:5], v[32:33], s[6:7], v[2:3] op_sel:[0,0,1] op_sel_hi:[1,0,0] neg_lo:[0,0,1] neg_hi:[0,0,1]
	v_pk_fma_f32 v[2:3], v[32:33], s[6:7], v[2:3] op_sel:[0,0,1] op_sel_hi:[1,0,0]
	v_mov_b32_e32 v6, v4
	v_mov_b32_e32 v7, v3
	v_pk_fma_f32 v[10:11], v[28:29], s[20:21], v[8:9] op_sel:[0,0,1] op_sel_hi:[1,0,0] neg_lo:[0,0,1] neg_hi:[0,0,1]
	v_pk_fma_f32 v[8:9], v[28:29], s[20:21], v[8:9] op_sel:[0,0,1] op_sel_hi:[1,0,0]
	v_pk_add_f32 v[6:7], v[6:7], v[0:1]
	v_mov_b32_e32 v12, v10
	v_mov_b32_e32 v13, v9
	s_mov_b32 s30, 0x3e903f40
	v_pk_add_f32 v[6:7], v[12:13], v[6:7]
	v_pk_mul_f32 v[12:13], v[26:27], s[30:31] op_sel_hi:[1,0]
	s_mov_b32 s34, 0x3f7d64f0
	v_pk_fma_f32 v[14:15], v[24:25], s[26:27], v[12:13] op_sel:[0,0,1] op_sel_hi:[1,0,0] neg_lo:[0,0,1] neg_hi:[0,0,1]
	v_pk_fma_f32 v[12:13], v[24:25], s[26:27], v[12:13] op_sel:[0,0,1] op_sel_hi:[1,0,0]
	v_mov_b32_e32 v16, v14
	v_mov_b32_e32 v17, v13
	v_pk_add_f32 v[6:7], v[16:17], v[6:7]
	v_pk_mul_f32 v[16:17], v[22:23], s[34:35] op_sel_hi:[1,0]
	s_mov_b32 s36, 0x3f0a6770
	v_pk_fma_f32 v[18:19], v[20:21], s[14:15], v[16:17] op_sel:[0,0,1] op_sel_hi:[1,0,0] neg_lo:[0,0,1] neg_hi:[0,0,1]
	v_pk_fma_f32 v[16:17], v[20:21], s[14:15], v[16:17] op_sel:[0,0,1] op_sel_hi:[1,0,0]
	v_mov_b32_e32 v40, v18
	v_mov_b32_e32 v41, v17
	v_pk_add_f32 v[6:7], v[40:41], v[6:7]
	v_pk_mul_f32 v[40:41], v[38:39], s[36:37] op_sel_hi:[1,0]
	v_pk_mul_f32 v[50:51], v[30:31], s[30:31] op_sel_hi:[1,0]
	v_pk_fma_f32 v[42:43], v[36:37], s[16:17], v[40:41] op_sel:[0,0,1] op_sel_hi:[1,0,0] neg_lo:[0,0,1] neg_hi:[0,0,1]
	v_pk_fma_f32 v[40:41], v[36:37], s[16:17], v[40:41] op_sel:[0,0,1] op_sel_hi:[1,0,0]
	v_mov_b32_e32 v44, v42
	v_mov_b32_e32 v45, v41
	v_pk_add_f32 v[6:7], v[44:45], v[6:7]
	v_pk_mul_f32 v[44:45], v[34:35], s[18:19] op_sel_hi:[1,0]
	v_pk_fma_f32 v[56:57], v[28:29], s[26:27], v[50:51] op_sel:[0,0,1] op_sel_hi:[1,0,0] neg_lo:[0,0,1] neg_hi:[0,0,1]
	v_pk_fma_f32 v[46:47], v[32:33], s[14:15], v[44:45] op_sel:[0,0,1] op_sel_hi:[1,0,0] neg_lo:[0,0,1] neg_hi:[0,0,1]
	v_pk_fma_f32 v[44:45], v[32:33], s[14:15], v[44:45] op_sel:[0,0,1] op_sel_hi:[1,0,0]
	v_mov_b32_e32 v48, v46
	v_mov_b32_e32 v49, v45
	v_pk_fma_f32 v[50:51], v[28:29], s[26:27], v[50:51] op_sel:[0,0,1] op_sel_hi:[1,0,0]
	v_pk_add_f32 v[48:49], v[48:49], v[0:1]
	v_mov_b32_e32 v60, v56
	v_mov_b32_e32 v61, v51
	s_mov_b32 s30, 0x3f68dda4
	v_pk_add_f32 v[48:49], v[60:61], v[48:49]
	v_pk_mul_f32 v[60:61], v[26:27], s[30:31] op_sel_hi:[1,0]
	v_pk_mul_f32 v[74:75], v[30:31], s[34:35] op_sel_hi:[1,0]
	v_pk_fma_f32 v[62:63], v[24:25], s[6:7], v[60:61] op_sel:[0,0,1] op_sel_hi:[1,0,0] neg_lo:[0,0,1] neg_hi:[0,0,1]
	v_pk_fma_f32 v[60:61], v[24:25], s[6:7], v[60:61] op_sel:[0,0,1] op_sel_hi:[1,0,0]
	v_mov_b32_e32 v64, v62
	v_mov_b32_e32 v65, v61
	v_pk_add_f32 v[48:49], v[64:65], v[48:49]
	v_pk_mul_f32 v[64:65], v[22:23], s[24:25] op_sel_hi:[1,0]
	v_pk_fma_f32 v[76:77], v[28:29], s[14:15], v[74:75] op_sel:[0,0,1] op_sel_hi:[1,0,0] neg_lo:[0,0,1] neg_hi:[0,0,1]
	v_pk_fma_f32 v[66:67], v[20:21], s[16:17], v[64:65] op_sel:[0,0,1] op_sel_hi:[1,0,0] neg_lo:[0,0,1] neg_hi:[0,0,1]
	v_pk_fma_f32 v[64:65], v[20:21], s[16:17], v[64:65] op_sel:[0,0,1] op_sel_hi:[1,0,0]
	v_mov_b32_e32 v68, v66
	v_mov_b32_e32 v69, v65
	v_pk_add_f32 v[48:49], v[68:69], v[48:49]
	v_pk_mul_f32 v[68:69], v[38:39], s[22:23] op_sel_hi:[1,0]
	v_pk_fma_f32 v[74:75], v[28:29], s[14:15], v[74:75] op_sel:[0,0,1] op_sel_hi:[1,0,0]
	v_pk_fma_f32 v[70:71], v[36:37], s[20:21], v[68:69] op_sel:[0,0,1] op_sel_hi:[1,0,0] neg_lo:[0,0,1] neg_hi:[0,0,1]
	v_pk_fma_f32 v[68:69], v[36:37], s[20:21], v[68:69] op_sel:[0,0,1] op_sel_hi:[1,0,0]
	v_mov_b32_e32 v72, v70
	v_mov_b32_e32 v73, v69
	v_pk_add_f32 v[48:49], v[72:73], v[48:49]
	ds_write2_b64 v53, v[6:7], v[48:49] offset0:2 offset1:3
	v_pk_mul_f32 v[6:7], v[34:35], s[22:23] op_sel_hi:[1,0]
	v_mov_b32_e32 v78, v76
	v_pk_fma_f32 v[48:49], v[32:33], s[20:21], v[6:7] op_sel:[0,0,1] op_sel_hi:[1,0,0] neg_lo:[0,0,1] neg_hi:[0,0,1]
	v_pk_fma_f32 v[6:7], v[32:33], s[20:21], v[6:7] op_sel:[0,0,1] op_sel_hi:[1,0,0]
	v_mov_b32_e32 v72, v48
	v_mov_b32_e32 v73, v7
	v_pk_add_f32 v[72:73], v[72:73], v[0:1]
	v_mov_b32_e32 v79, v75
	v_pk_add_f32 v[72:73], v[78:79], v[72:73]
	v_pk_mul_f32 v[78:79], v[26:27], s[24:25] op_sel_hi:[1,0]
	v_pk_mul_f32 v[34:35], v[34:35], s[28:29] op_sel_hi:[1,0]
	v_pk_fma_f32 v[80:81], v[24:25], s[16:17], v[78:79] op_sel:[0,0,1] op_sel_hi:[1,0,0] neg_lo:[0,0,1] neg_hi:[0,0,1]
	v_pk_fma_f32 v[78:79], v[24:25], s[16:17], v[78:79] op_sel:[0,0,1] op_sel_hi:[1,0,0]
	v_mov_b32_e32 v82, v80
	v_mov_b32_e32 v83, v79
	v_pk_add_f32 v[72:73], v[82:83], v[72:73]
	v_pk_mul_f32 v[82:83], v[22:23], s[28:29] op_sel_hi:[1,0]
	v_pk_mul_f32 v[30:31], v[30:31], s[36:37] op_sel_hi:[1,0]
	v_pk_fma_f32 v[84:85], v[20:21], s[26:27], v[82:83] op_sel:[0,0,1] op_sel_hi:[1,0,0] neg_lo:[0,0,1] neg_hi:[0,0,1]
	v_pk_fma_f32 v[82:83], v[20:21], s[26:27], v[82:83] op_sel:[0,0,1] op_sel_hi:[1,0,0]
	v_mov_b32_e32 v86, v84
	;; [unrolled: 7-line block ×3, first 2 shown]
	v_mov_b32_e32 v91, v87
	v_pk_add_f32 v[72:73], v[90:91], v[72:73]
	v_pk_fma_f32 v[90:91], v[32:33], s[26:27], v[34:35] op_sel:[0,0,1] op_sel_hi:[1,0,0] neg_lo:[0,0,1] neg_hi:[0,0,1]
	v_pk_fma_f32 v[32:33], v[32:33], s[26:27], v[34:35] op_sel:[0,0,1] op_sel_hi:[1,0,0]
	v_pk_fma_f32 v[34:35], v[28:29], s[16:17], v[30:31] op_sel:[0,0,1] op_sel_hi:[1,0,0] neg_lo:[0,0,1] neg_hi:[0,0,1]
	v_pk_fma_f32 v[28:29], v[28:29], s[16:17], v[30:31] op_sel:[0,0,1] op_sel_hi:[1,0,0]
	v_mov_b32_e32 v30, v90
	v_mov_b32_e32 v31, v33
	v_pk_add_f32 v[30:31], v[30:31], v[0:1]
	v_mov_b32_e32 v92, v34
	v_mov_b32_e32 v93, v29
	v_pk_add_f32 v[30:31], v[92:93], v[30:31]
	v_pk_fma_f32 v[92:93], v[24:25], s[20:21], v[26:27] op_sel:[0,0,1] op_sel_hi:[1,0,0] neg_lo:[0,0,1] neg_hi:[0,0,1]
	v_pk_fma_f32 v[24:25], v[24:25], s[20:21], v[26:27] op_sel:[0,0,1] op_sel_hi:[1,0,0]
	v_mov_b32_e32 v26, v92
	v_mov_b32_e32 v27, v25
	v_pk_mul_f32 v[22:23], v[22:23], s[30:31] op_sel_hi:[1,0]
	v_pk_add_f32 v[26:27], v[26:27], v[30:31]
	v_pk_fma_f32 v[30:31], v[20:21], s[6:7], v[22:23] op_sel:[0,0,1] op_sel_hi:[1,0,0] neg_lo:[0,0,1] neg_hi:[0,0,1]
	v_pk_fma_f32 v[20:21], v[20:21], s[6:7], v[22:23] op_sel:[0,0,1] op_sel_hi:[1,0,0]
	v_mov_b32_e32 v22, v30
	v_mov_b32_e32 v23, v21
	v_pk_add_f32 v[22:23], v[22:23], v[26:27]
	v_pk_mul_f32 v[26:27], v[38:39], s[18:19] op_sel_hi:[1,0]
	v_mov_b32_e32 v33, v91
	v_pk_fma_f32 v[38:39], v[36:37], s[14:15], v[26:27] op_sel:[0,0,1] op_sel_hi:[1,0,0] neg_lo:[0,0,1] neg_hi:[0,0,1]
	v_pk_fma_f32 v[26:27], v[36:37], s[14:15], v[26:27] op_sel:[0,0,1] op_sel_hi:[1,0,0]
	v_mov_b32_e32 v36, v38
	v_mov_b32_e32 v37, v27
	v_pk_add_f32 v[22:23], v[36:37], v[22:23]
	v_mov_b32_e32 v7, v49
	ds_write2_b64 v53, v[72:73], v[22:23] offset0:4 offset1:5
	v_mov_b32_e32 v29, v35
	v_pk_add_f32 v[22:23], v[32:33], v[0:1]
	v_mov_b32_e32 v75, v77
	v_pk_add_f32 v[6:7], v[6:7], v[0:1]
	v_pk_add_f32 v[22:23], v[28:29], v[22:23]
	v_mov_b32_e32 v25, v93
	v_pk_add_f32 v[6:7], v[74:75], v[6:7]
	v_mov_b32_e32 v79, v81
	;; [unrolled: 2-line block ×6, first 2 shown]
	v_pk_add_f32 v[20:21], v[26:27], v[20:21]
	v_pk_add_f32 v[6:7], v[86:87], v[6:7]
	v_mov_b32_e32 v45, v47
	v_mov_b32_e32 v3, v5
	ds_write2_b64 v53, v[20:21], v[6:7] offset0:6 offset1:7
	v_pk_add_f32 v[6:7], v[44:45], v[0:1]
	v_mov_b32_e32 v51, v57
	v_pk_add_f32 v[0:1], v[2:3], v[0:1]
	v_mov_b32_e32 v9, v11
	v_pk_add_f32 v[6:7], v[50:51], v[6:7]
	v_mov_b32_e32 v61, v63
	v_pk_add_f32 v[0:1], v[8:9], v[0:1]
	v_mov_b32_e32 v13, v15
	v_pk_add_f32 v[6:7], v[60:61], v[6:7]
	v_mov_b32_e32 v65, v67
	v_pk_add_f32 v[0:1], v[12:13], v[0:1]
	v_mov_b32_e32 v17, v19
	v_pk_add_f32 v[6:7], v[64:65], v[6:7]
	v_mov_b32_e32 v69, v71
	v_pk_add_f32 v[0:1], v[16:17], v[0:1]
	v_mov_b32_e32 v41, v43
	v_pk_add_f32 v[6:7], v[68:69], v[6:7]
	v_pk_add_f32 v[0:1], v[40:41], v[0:1]
	ds_write2_b64 v53, v[6:7], v[0:1] offset0:8 offset1:9
	ds_write_b64 v53, v[58:59] offset:80
.LBB0_7:
	s_or_b64 exec, exec, s[0:1]
	s_movk_i32 s0, 0x75
	v_mul_lo_u16_sdwa v0, v55, s0 dst_sel:DWORD dst_unused:UNUSED_PAD src0_sel:BYTE_0 src1_sel:DWORD
	v_sub_u16_sdwa v1, v55, v0 dst_sel:DWORD dst_unused:UNUSED_PAD src0_sel:DWORD src1_sel:BYTE_1
	v_lshrrev_b16_e32 v1, 1, v1
	v_and_b32_e32 v1, 0x7f, v1
	v_add_u16_sdwa v0, v1, v0 dst_sel:DWORD dst_unused:UNUSED_PAD src0_sel:DWORD src1_sel:BYTE_1
	v_lshrrev_b16_e32 v53, 3, v0
	v_mul_lo_u16_e32 v0, 11, v53
	v_sub_u16_e32 v0, v55, v0
	v_and_b32_e32 v72, 0xff, v0
	s_movk_i32 s0, 0x48
	v_mov_b64_e32 v[0:1], s[10:11]
	v_mad_u64_u32 v[16:17], s[0:1], v72, s0, v[0:1]
	s_load_dwordx4 s[4:7], s[4:5], 0x0
	s_waitcnt lgkmcnt(0)
	; wave barrier
	s_waitcnt lgkmcnt(0)
	global_load_dwordx4 v[12:15], v[16:17], off
	global_load_dwordx4 v[8:11], v[16:17], off offset:16
	global_load_dwordx4 v[4:7], v[16:17], off offset:32
	;; [unrolled: 1-line block ×3, first 2 shown]
	global_load_dwordx2 v[56:57], v[16:17], off offset:64
	v_add_u32_e32 v61, 0x400, v52
	ds_read2_b64 v[16:19], v52 offset1:55
	ds_read2_b64 v[20:23], v52 offset0:110 offset1:165
	v_add_u32_e32 v60, 0x800, v52
	ds_read2_b64 v[24:27], v61 offset0:92 offset1:147
	ds_read2_b64 v[28:31], v60 offset0:74 offset1:129
	;; [unrolled: 1-line block ×3, first 2 shown]
	s_mov_b32 s0, 0x3f737871
	s_mov_b32 s14, 0x3f167918
	;; [unrolled: 1-line block ×4, first 2 shown]
	s_waitcnt lgkmcnt(0)
	; wave barrier
	s_waitcnt lgkmcnt(0)
	s_mov_b32 s20, 0xbf737871
	s_mov_b32 s21, s0
	s_waitcnt vmcnt(4)
	v_pk_mul_f32 v[36:37], v[18:19], v[12:13] op_sel:[0,1]
	v_mov_b32_e32 v38, v15
	s_waitcnt vmcnt(3)
	v_pk_mul_f32 v[40:41], v[22:23], v[8:9] op_sel:[0,1]
	v_mov_b32_e32 v42, v11
	;; [unrolled: 3-line block ×4, first 2 shown]
	s_waitcnt vmcnt(0)
	v_pk_mul_f32 v[62:63], v[34:35], v[56:57] op_sel:[0,1]
	v_pk_mul_f32 v[38:39], v[20:21], v[38:39] op_sel_hi:[1,0]
	v_pk_fma_f32 v[64:65], v[22:23], v[8:9], v[40:41] op_sel:[0,0,1] op_sel_hi:[1,1,0] neg_lo:[0,0,1] neg_hi:[0,0,1]
	v_pk_fma_f32 v[22:23], v[22:23], v[8:9], v[40:41] op_sel:[0,0,1] op_sel_hi:[1,0,0]
	v_pk_mul_f32 v[40:41], v[24:25], v[42:43] op_sel_hi:[1,0]
	v_pk_fma_f32 v[42:43], v[26:27], v[4:5], v[44:45] op_sel:[0,0,1] op_sel_hi:[1,1,0] neg_lo:[0,0,1] neg_hi:[0,0,1]
	v_pk_fma_f32 v[26:27], v[26:27], v[4:5], v[44:45] op_sel:[0,0,1] op_sel_hi:[1,0,0]
	v_pk_fma_f32 v[44:45], v[18:19], v[12:13], v[36:37] op_sel:[0,0,1] op_sel_hi:[1,1,0] neg_lo:[0,0,1] neg_hi:[0,0,1]
	v_pk_fma_f32 v[18:19], v[18:19], v[12:13], v[36:37] op_sel:[0,0,1] op_sel_hi:[1,0,0]
	v_pk_mul_f32 v[36:37], v[28:29], v[46:47] op_sel_hi:[1,0]
	v_pk_fma_f32 v[46:47], v[30:31], v[0:1], v[48:49] op_sel:[0,0,1] op_sel_hi:[1,1,0] neg_lo:[0,0,1] neg_hi:[0,0,1]
	v_pk_fma_f32 v[30:31], v[30:31], v[0:1], v[48:49] op_sel:[0,0,1] op_sel_hi:[1,0,0]
	v_pk_mul_f32 v[48:49], v[32:33], v[50:51] op_sel_hi:[1,0]
	v_pk_fma_f32 v[50:51], v[34:35], v[56:57], v[62:63] op_sel:[0,0,1] op_sel_hi:[1,1,0] neg_lo:[0,0,1] neg_hi:[0,0,1]
	v_pk_fma_f32 v[34:35], v[34:35], v[56:57], v[62:63] op_sel:[0,0,1] op_sel_hi:[1,0,0]
	v_pk_fma_f32 v[62:63], v[20:21], v[14:15], v[38:39] op_sel:[0,0,1] op_sel_hi:[1,1,0] neg_lo:[0,0,1] neg_hi:[0,0,1]
	v_pk_fma_f32 v[20:21], v[20:21], v[14:15], v[38:39] op_sel:[0,0,1] op_sel_hi:[1,0,0]
	;; [unrolled: 2-line block ×3, first 2 shown]
	v_mov_b32_e32 v45, v19
	v_mov_b32_e32 v65, v23
	v_mov_b32_e32 v43, v27
	v_pk_fma_f32 v[18:19], v[28:29], v[6:7], v[36:37] op_sel:[0,0,1] op_sel_hi:[1,1,0] neg_lo:[0,0,1] neg_hi:[0,0,1]
	v_pk_fma_f32 v[22:23], v[28:29], v[6:7], v[36:37] op_sel:[0,0,1] op_sel_hi:[1,0,0]
	v_mov_b32_e32 v47, v31
	v_pk_fma_f32 v[26:27], v[32:33], v[2:3], v[48:49] op_sel:[0,0,1] op_sel_hi:[1,1,0] neg_lo:[0,0,1] neg_hi:[0,0,1]
	v_pk_fma_f32 v[28:29], v[32:33], v[2:3], v[48:49] op_sel:[0,0,1] op_sel_hi:[1,0,0]
	v_mov_b32_e32 v51, v35
	v_mov_b32_e32 v63, v21
	;; [unrolled: 1-line block ×5, first 2 shown]
	v_pk_add_f32 v[20:21], v[42:43], v[46:47]
	v_pk_add_f32 v[22:23], v[64:65], v[50:51] neg_lo:[0,1] neg_hi:[0,1]
	v_pk_add_f32 v[24:25], v[42:43], v[46:47] neg_lo:[0,1] neg_hi:[0,1]
	;; [unrolled: 1-line block ×4, first 2 shown]
	v_pk_add_f32 v[32:33], v[38:39], v[18:19]
	v_pk_add_f32 v[34:35], v[62:63], v[26:27] neg_lo:[0,1] neg_hi:[0,1]
	v_pk_add_f32 v[36:37], v[62:63], v[38:39] neg_lo:[0,1] neg_hi:[0,1]
	;; [unrolled: 1-line block ×3, first 2 shown]
	v_pk_fma_f32 v[20:21], v[20:21], 0.5, v[44:45] op_sel_hi:[1,0,1] neg_lo:[1,0,0] neg_hi:[1,0,0]
	v_pk_mul_f32 v[48:49], v[22:23], s[0:1] op_sel_hi:[1,0]
	v_pk_add_f32 v[28:29], v[28:29], v[30:31]
	v_pk_mul_f32 v[30:31], v[24:25], s[14:15] op_sel_hi:[1,0]
	v_pk_add_f32 v[66:67], v[38:39], v[18:19] neg_lo:[0,1] neg_hi:[0,1]
	v_pk_fma_f32 v[32:33], v[32:33], 0.5, v[16:17] op_sel_hi:[1,0,1] neg_lo:[1,0,0] neg_hi:[1,0,0]
	v_pk_mul_f32 v[68:69], v[34:35], s[0:1] op_sel_hi:[1,0]
	v_pk_add_f32 v[36:37], v[36:37], v[40:41]
	v_pk_add_f32 v[40:41], v[20:21], v[48:49] op_sel:[0,1] op_sel_hi:[1,0]
	v_pk_add_f32 v[20:21], v[20:21], v[48:49] op_sel:[0,1] op_sel_hi:[1,0] neg_lo:[0,1] neg_hi:[0,1]
	v_pk_mul_f32 v[48:49], v[66:67], s[14:15] op_sel_hi:[1,0]
	v_pk_add_f32 v[70:71], v[32:33], v[68:69] op_sel:[0,1] op_sel_hi:[1,0]
	v_pk_add_f32 v[32:33], v[32:33], v[68:69] op_sel:[0,1] op_sel_hi:[1,0] neg_lo:[0,1] neg_hi:[0,1]
	v_pk_add_f32 v[20:21], v[20:21], v[30:31] op_sel:[0,1] op_sel_hi:[1,0] neg_lo:[0,1] neg_hi:[0,1]
	v_pk_add_f32 v[30:31], v[40:41], v[30:31] op_sel:[0,1] op_sel_hi:[1,0]
	v_pk_add_f32 v[32:33], v[32:33], v[48:49] op_sel:[0,1] op_sel_hi:[1,0] neg_lo:[0,1] neg_hi:[0,1]
	v_pk_add_f32 v[40:41], v[70:71], v[48:49] op_sel:[0,1] op_sel_hi:[1,0]
	v_mov_b32_e32 v48, v30
	v_mov_b32_e32 v49, v21
	v_pk_fma_f32 v[48:49], v[28:29], s[16:17], v[48:49] op_sel_hi:[1,0,1]
	v_mul_u32_u24_e32 v21, 0x6e, v53
	v_pk_mul_f32 v[68:69], v[48:49], s[14:15] op_sel_hi:[1,0]
	v_add_lshl_u32 v95, v21, v72, 3
	v_pk_fma_f32 v[70:71], v[48:49], s[18:19], v[68:69] op_sel:[0,0,1] op_sel_hi:[1,0,0]
	v_pk_fma_f32 v[48:49], v[48:49], s[18:19], v[68:69] op_sel:[0,0,1] op_sel_hi:[1,0,0] neg_lo:[0,0,1] neg_hi:[0,0,1]
	v_pk_add_f32 v[68:69], v[44:45], v[64:65]
	v_mov_b32_e32 v71, v49
	v_pk_add_f32 v[48:49], v[16:17], v[62:63]
	v_pk_add_f32 v[68:69], v[68:69], v[42:43]
	;; [unrolled: 1-line block ×5, first 2 shown]
	v_mov_b32_e32 v72, v40
	v_mov_b32_e32 v73, v33
	v_pk_add_f32 v[48:49], v[48:49], v[26:27]
	v_pk_add_f32 v[68:69], v[68:69], v[50:51]
	v_pk_fma_f32 v[72:73], v[36:37], s[16:17], v[72:73] op_sel_hi:[1,0,1]
	v_pk_add_f32 v[74:75], v[48:49], v[68:69]
	v_pk_add_f32 v[76:77], v[72:73], v[70:71]
	v_pk_add_f32 v[38:39], v[38:39], v[62:63] neg_lo:[0,1] neg_hi:[0,1]
	v_pk_add_f32 v[18:19], v[18:19], v[26:27] neg_lo:[0,1] neg_hi:[0,1]
	ds_write2_b64 v95, v[74:75], v[76:77] offset1:11
	v_pk_add_f32 v[74:75], v[62:63], v[26:27]
	v_pk_add_f32 v[18:19], v[38:39], v[18:19]
	v_pk_add_f32 v[38:39], v[42:43], v[64:65] neg_lo:[0,1] neg_hi:[0,1]
	v_pk_add_f32 v[42:43], v[46:47], v[50:51] neg_lo:[0,1] neg_hi:[0,1]
	v_pk_fma_f32 v[16:17], v[74:75], 0.5, v[16:17] op_sel_hi:[1,0,1] neg_lo:[1,0,0] neg_hi:[1,0,0]
	v_pk_add_f32 v[26:27], v[64:65], v[50:51]
	v_pk_add_f32 v[38:39], v[38:39], v[42:43]
	v_pk_mul_f32 v[42:43], v[66:67], s[0:1] op_sel_hi:[1,0]
	v_pk_fma_f32 v[26:27], v[26:27], 0.5, v[44:45] op_sel_hi:[1,0,1] neg_lo:[1,0,0] neg_hi:[1,0,0]
	v_pk_mul_f32 v[34:35], v[34:35], s[14:15] op_sel_hi:[1,0]
	v_pk_add_f32 v[44:45], v[16:17], v[42:43] op_sel:[0,1] op_sel_hi:[1,0] neg_lo:[0,1] neg_hi:[0,1]
	v_pk_add_f32 v[16:17], v[16:17], v[42:43] op_sel:[0,1] op_sel_hi:[1,0]
	v_pk_mul_f32 v[24:25], v[24:25], s[0:1] op_sel_hi:[1,0]
	v_pk_add_f32 v[16:17], v[16:17], v[34:35] op_sel:[0,1] op_sel_hi:[1,0] neg_lo:[0,1] neg_hi:[0,1]
	v_pk_add_f32 v[34:35], v[44:45], v[34:35] op_sel:[0,1] op_sel_hi:[1,0]
	;; [unrolled: 3-line block ×3, first 2 shown]
	v_mov_b32_e32 v42, v34
	v_pk_add_f32 v[24:25], v[24:25], v[22:23] op_sel:[0,1] op_sel_hi:[1,0] neg_lo:[0,1] neg_hi:[0,1]
	v_pk_add_f32 v[22:23], v[44:45], v[22:23] op_sel:[0,1] op_sel_hi:[1,0]
	v_mov_b32_e32 v27, v25
	v_mov_b32_e32 v26, v22
	;; [unrolled: 1-line block ×3, first 2 shown]
	v_pk_fma_f32 v[26:27], v[38:39], s[16:17], v[26:27] op_sel_hi:[1,0,1]
	v_mov_b32_e32 v17, v35
	v_mov_b32_e32 v25, v23
	v_pk_fma_f32 v[42:43], v[18:19], s[16:17], v[42:43] op_sel_hi:[1,0,1]
	v_pk_mul_f32 v[44:45], v[26:27], s[0:1] op_sel_hi:[1,0]
	v_pk_fma_f32 v[16:17], v[18:19], s[16:17], v[16:17] op_sel_hi:[1,0,1]
	v_pk_fma_f32 v[18:19], v[38:39], s[16:17], v[24:25] op_sel_hi:[1,0,1]
	v_pk_fma_f32 v[46:47], v[26:27], s[16:17], v[44:45] op_sel:[0,0,1] op_sel_hi:[1,0,0]
	v_pk_fma_f32 v[26:27], v[26:27], s[16:17], v[44:45] op_sel:[0,0,1] op_sel_hi:[1,0,0] neg_lo:[0,0,1] neg_hi:[0,0,1]
	v_pk_mul_f32 v[22:23], v[18:19], s[16:17] op_sel_hi:[1,0]
	v_mov_b32_e32 v21, v31
	v_mov_b32_e32 v47, v27
	v_pk_fma_f32 v[18:19], v[18:19], s[20:21], v[22:23] op_sel:[0,0,1] op_sel_hi:[1,1,0] neg_lo:[0,0,1] neg_hi:[0,0,1]
	v_pk_fma_f32 v[20:21], v[28:29], s[16:17], v[20:21] op_sel_hi:[1,0,1]
	v_pk_add_f32 v[26:27], v[42:43], v[46:47]
	v_pk_add_f32 v[22:23], v[16:17], v[18:19] op_sel:[0,1] op_sel_hi:[1,0]
	v_mov_b32_e32 v33, v41
	s_mov_b32 s20, 0xbf167918
	s_mov_b32 s21, s14
	v_pk_mul_f32 v[24:25], v[20:21], s[18:19] op_sel_hi:[1,0]
	ds_write2_b64 v95, v[26:27], v[22:23] offset0:22 offset1:33
	v_pk_fma_f32 v[22:23], v[36:37], s[16:17], v[32:33] op_sel_hi:[1,0,1]
	v_pk_fma_f32 v[20:21], v[20:21], s[20:21], v[24:25] op_sel:[0,0,1] op_sel_hi:[1,1,0] neg_lo:[0,0,1] neg_hi:[0,0,1]
	v_pk_add_f32 v[26:27], v[48:49], v[68:69] neg_lo:[0,1] neg_hi:[0,1]
	v_pk_add_f32 v[24:25], v[22:23], v[20:21] op_sel:[0,1] op_sel_hi:[1,0]
	v_lshlrev_b32_e32 v40, 5, v55
	ds_write2_b64 v95, v[24:25], v[26:27] offset0:44 offset1:55
	v_pk_add_f32 v[24:25], v[72:73], v[70:71] neg_lo:[0,1] neg_hi:[0,1]
	v_pk_add_f32 v[26:27], v[42:43], v[46:47] neg_lo:[0,1] neg_hi:[0,1]
	v_pk_add_f32 v[16:17], v[16:17], v[18:19] op_sel:[0,1] op_sel_hi:[1,0] neg_lo:[0,1] neg_hi:[0,1]
	v_pk_add_f32 v[18:19], v[22:23], v[20:21] op_sel:[0,1] op_sel_hi:[1,0] neg_lo:[0,1] neg_hi:[0,1]
	ds_write2_b64 v95, v[24:25], v[26:27] offset0:66 offset1:77
	ds_write2_b64 v95, v[16:17], v[18:19] offset0:88 offset1:99
	s_waitcnt lgkmcnt(0)
	; wave barrier
	s_waitcnt lgkmcnt(0)
	global_load_dwordx4 v[28:31], v40, s[10:11] offset:792
	global_load_dwordx4 v[24:27], v40, s[10:11] offset:808
	v_add_u32_e32 v32, 0x6e0, v40
	global_load_dwordx4 v[20:23], v32, s[10:11] offset:792
	global_load_dwordx4 v[16:19], v32, s[10:11] offset:808
	ds_read2_b64 v[32:35], v52 offset0:110 offset1:165
	ds_read2_b64 v[36:39], v61 offset0:92 offset1:147
	;; [unrolled: 1-line block ×4, first 2 shown]
	s_waitcnt vmcnt(3) lgkmcnt(3)
	v_pk_mul_f32 v[48:49], v[32:33], v[28:29] op_sel:[0,1]
	s_nop 0
	v_pk_fma_f32 v[50:51], v[32:33], v[28:29], v[48:49] op_sel:[0,0,1] op_sel_hi:[1,1,0] neg_lo:[0,0,1] neg_hi:[0,0,1]
	v_pk_fma_f32 v[32:33], v[32:33], v[28:29], v[48:49] op_sel:[0,0,1] op_sel_hi:[1,0,0]
	s_nop 0
	v_mov_b32_e32 v32, v31
	v_mov_b32_e32 v51, v33
	s_waitcnt lgkmcnt(2)
	v_pk_mul_f32 v[32:33], v[36:37], v[32:33] op_sel_hi:[1,0]
	s_nop 0
	v_pk_fma_f32 v[48:49], v[36:37], v[30:31], v[32:33] op_sel:[0,0,1] op_sel_hi:[1,1,0] neg_lo:[0,0,1] neg_hi:[0,0,1]
	v_pk_fma_f32 v[32:33], v[36:37], v[30:31], v[32:33] op_sel:[0,0,1] op_sel_hi:[1,0,0]
	s_nop 0
	v_mov_b32_e32 v49, v33
	s_waitcnt vmcnt(2) lgkmcnt(1)
	v_pk_mul_f32 v[32:33], v[40:41], v[24:25] op_sel:[0,1]
	s_nop 0
	v_pk_fma_f32 v[36:37], v[40:41], v[24:25], v[32:33] op_sel:[0,0,1] op_sel_hi:[1,1,0] neg_lo:[0,0,1] neg_hi:[0,0,1]
	v_pk_fma_f32 v[32:33], v[40:41], v[24:25], v[32:33] op_sel:[0,0,1] op_sel_hi:[1,0,0]
	s_nop 0
	v_mov_b32_e32 v32, v27
	v_mov_b32_e32 v37, v33
	s_waitcnt lgkmcnt(0)
	v_pk_mul_f32 v[32:33], v[44:45], v[32:33] op_sel_hi:[1,0]
	s_nop 0
	v_pk_fma_f32 v[40:41], v[44:45], v[26:27], v[32:33] op_sel:[0,0,1] op_sel_hi:[1,1,0] neg_lo:[0,0,1] neg_hi:[0,0,1]
	v_pk_fma_f32 v[32:33], v[44:45], v[26:27], v[32:33] op_sel:[0,0,1] op_sel_hi:[1,0,0]
	s_nop 0
	v_mov_b32_e32 v41, v33
	s_waitcnt vmcnt(1)
	v_pk_mul_f32 v[32:33], v[34:35], v[20:21] op_sel:[0,1]
	v_pk_add_f32 v[44:45], v[36:37], v[40:41] neg_lo:[0,1] neg_hi:[0,1]
	v_pk_fma_f32 v[62:63], v[34:35], v[20:21], v[32:33] op_sel:[0,0,1] op_sel_hi:[1,1,0] neg_lo:[0,0,1] neg_hi:[0,0,1]
	v_pk_fma_f32 v[32:33], v[34:35], v[20:21], v[32:33] op_sel:[0,0,1] op_sel_hi:[1,0,0]
	v_pk_add_f32 v[34:35], v[48:49], v[50:51] neg_lo:[0,1] neg_hi:[0,1]
	v_mov_b32_e32 v32, v23
	v_pk_add_f32 v[64:65], v[34:35], v[44:45]
	v_mov_b32_e32 v63, v33
	v_pk_mul_f32 v[32:33], v[38:39], v[32:33] op_sel_hi:[1,0]
	s_waitcnt vmcnt(0)
	v_pk_mul_f32 v[34:35], v[42:43], v[16:17] op_sel:[0,1]
	v_pk_fma_f32 v[66:67], v[38:39], v[22:23], v[32:33] op_sel:[0,0,1] op_sel_hi:[1,1,0] neg_lo:[0,0,1] neg_hi:[0,0,1]
	v_pk_fma_f32 v[32:33], v[38:39], v[22:23], v[32:33] op_sel:[0,0,1] op_sel_hi:[1,0,0]
	v_pk_fma_f32 v[68:69], v[42:43], v[16:17], v[34:35] op_sel:[0,0,1] op_sel_hi:[1,1,0] neg_lo:[0,0,1] neg_hi:[0,0,1]
	v_pk_fma_f32 v[34:35], v[42:43], v[16:17], v[34:35] op_sel:[0,0,1] op_sel_hi:[1,0,0]
	ds_read2_b64 v[42:45], v52 offset1:55
	v_mov_b32_e32 v32, v19
	v_pk_mul_f32 v[38:39], v[46:47], v[32:33] op_sel_hi:[1,0]
	v_mov_b32_e32 v67, v33
	v_pk_fma_f32 v[70:71], v[46:47], v[18:19], v[38:39] op_sel:[0,0,1] op_sel_hi:[1,1,0] neg_lo:[0,0,1] neg_hi:[0,0,1]
	v_pk_fma_f32 v[38:39], v[46:47], v[18:19], v[38:39] op_sel:[0,0,1] op_sel_hi:[1,0,0]
	v_pk_add_f32 v[32:33], v[50:51], v[48:49] neg_lo:[0,1] neg_hi:[0,1]
	v_mov_b32_e32 v69, v35
	v_pk_add_f32 v[34:35], v[40:41], v[36:37] neg_lo:[0,1] neg_hi:[0,1]
	v_mov_b32_e32 v71, v39
	v_pk_add_f32 v[38:39], v[32:33], v[34:35]
	v_pk_add_f32 v[32:33], v[48:49], v[36:37]
	v_pk_add_f32 v[34:35], v[50:51], v[40:41] neg_lo:[0,1] neg_hi:[0,1]
	s_waitcnt lgkmcnt(0)
	v_pk_fma_f32 v[32:33], v[32:33], 0.5, v[42:43] op_sel_hi:[1,0,1] neg_lo:[1,0,0] neg_hi:[1,0,0]
	v_pk_mul_f32 v[46:47], v[34:35], s[0:1] op_sel_hi:[1,0]
	v_pk_mul_f32 v[34:35], v[34:35], s[14:15] op_sel_hi:[1,0]
	v_pk_add_f32 v[72:73], v[32:33], v[46:47] op_sel:[0,1] op_sel_hi:[1,0] neg_lo:[0,1] neg_hi:[0,1]
	v_pk_add_f32 v[32:33], v[32:33], v[46:47] op_sel:[0,1] op_sel_hi:[1,0]
	v_pk_add_f32 v[46:47], v[42:43], v[50:51]
	s_nop 0
	v_pk_add_f32 v[46:47], v[46:47], v[48:49]
	s_nop 0
	v_pk_add_f32 v[46:47], v[46:47], v[36:37]
	v_pk_add_f32 v[36:37], v[48:49], v[36:37] neg_lo:[0,1] neg_hi:[0,1]
	v_pk_add_f32 v[48:49], v[50:51], v[40:41]
	s_nop 0
	v_pk_fma_f32 v[42:43], v[48:49], 0.5, v[42:43] op_sel_hi:[1,0,1] neg_lo:[1,0,0] neg_hi:[1,0,0]
	v_pk_mul_f32 v[48:49], v[36:37], s[0:1] op_sel_hi:[1,0]
	s_nop 0
	v_pk_add_f32 v[50:51], v[42:43], v[48:49] op_sel:[0,1] op_sel_hi:[1,0] neg_lo:[0,1] neg_hi:[0,1]
	v_pk_add_f32 v[42:43], v[48:49], v[42:43] op_sel:[1,0] op_sel_hi:[0,1]
	v_pk_add_f32 v[48:49], v[34:35], v[50:51] op_sel:[1,0] op_sel_hi:[0,1]
	v_pk_add_f32 v[42:43], v[42:43], v[34:35] op_sel:[0,1] op_sel_hi:[1,0] neg_lo:[0,1] neg_hi:[0,1]
	v_pk_mul_f32 v[34:35], v[36:37], s[14:15] op_sel_hi:[1,0]
	s_nop 0
	v_pk_add_f32 v[36:37], v[72:73], v[34:35] op_sel:[0,1] op_sel_hi:[1,0] neg_lo:[0,1] neg_hi:[0,1]
	v_pk_add_f32 v[50:51], v[32:33], v[34:35] op_sel:[0,1] op_sel_hi:[1,0]
	v_pk_add_f32 v[32:33], v[46:47], v[40:41]
	v_mov_b32_e32 v46, v42
	v_mov_b32_e32 v47, v49
	v_mov_b32_e32 v49, v43
	v_mov_b32_e32 v34, v50
	v_mov_b32_e32 v35, v37
	v_mov_b32_e32 v37, v51
	v_pk_fma_f32 v[40:41], v[64:65], s[16:17], v[48:49] op_sel_hi:[1,0,1]
	v_pk_fma_f32 v[42:43], v[64:65], s[16:17], v[46:47] op_sel_hi:[1,0,1]
	v_pk_add_f32 v[46:47], v[66:67], v[68:69]
	v_pk_add_f32 v[48:49], v[62:63], v[70:71]
	v_pk_fma_f32 v[34:35], v[38:39], s[16:17], v[34:35] op_sel_hi:[1,0,1]
	v_pk_fma_f32 v[36:37], v[38:39], s[16:17], v[36:37] op_sel_hi:[1,0,1]
	v_pk_add_f32 v[38:39], v[44:45], v[62:63]
	v_pk_fma_f32 v[46:47], v[46:47], 0.5, v[44:45] op_sel_hi:[1,0,1] neg_lo:[1,0,0] neg_hi:[1,0,0]
	v_pk_fma_f32 v[44:45], v[48:49], 0.5, v[44:45] op_sel_hi:[1,0,1] neg_lo:[1,0,0] neg_hi:[1,0,0]
	v_pk_add_f32 v[48:49], v[62:63], v[66:67] neg_lo:[0,1] neg_hi:[0,1]
	v_pk_add_f32 v[50:51], v[70:71], v[68:69] neg_lo:[0,1] neg_hi:[0,1]
	;; [unrolled: 1-line block ×3, first 2 shown]
	v_pk_add_f32 v[48:49], v[48:49], v[50:51]
	v_pk_add_f32 v[50:51], v[62:63], v[70:71] neg_lo:[0,1] neg_hi:[0,1]
	v_pk_add_f32 v[38:39], v[38:39], v[66:67]
	v_pk_fma_f32 v[64:65], v[50:51], s[0:1], v[46:47] op_sel:[1,0,0] op_sel_hi:[0,0,1]
	v_pk_fma_f32 v[46:47], v[50:51], s[0:1], v[46:47] op_sel:[1,0,0] op_sel_hi:[0,0,1] neg_lo:[1,0,0] neg_hi:[1,0,0]
	v_pk_fma_f32 v[46:47], v[72:73], s[14:15], v[46:47] op_sel:[1,0,0] op_sel_hi:[0,0,1] neg_lo:[1,0,0] neg_hi:[1,0,0]
	v_pk_fma_f32 v[64:65], v[72:73], s[14:15], v[64:65] op_sel:[1,0,0] op_sel_hi:[0,0,1]
	v_mov_b32_e32 v74, v64
	v_mov_b32_e32 v75, v47
	;; [unrolled: 1-line block ×3, first 2 shown]
	v_pk_fma_f32 v[64:65], v[72:73], s[0:1], v[44:45] op_sel:[1,0,0] op_sel_hi:[0,0,1] neg_lo:[1,0,0] neg_hi:[1,0,0]
	v_pk_fma_f32 v[44:45], v[72:73], s[0:1], v[44:45] op_sel:[1,0,0] op_sel_hi:[0,0,1]
	v_pk_fma_f32 v[72:73], v[50:51], s[14:15], v[44:45] op_sel:[1,0,0] op_sel_hi:[0,0,1] neg_lo:[1,0,0] neg_hi:[1,0,0]
	v_pk_fma_f32 v[64:65], v[50:51], s[14:15], v[64:65] op_sel:[1,0,0] op_sel_hi:[0,0,1]
	v_pk_add_f32 v[62:63], v[66:67], v[62:63] neg_lo:[0,1] neg_hi:[0,1]
	v_pk_add_f32 v[66:67], v[68:69], v[70:71] neg_lo:[0,1] neg_hi:[0,1]
	v_pk_add_f32 v[38:39], v[38:39], v[68:69]
	v_pk_fma_f32 v[44:45], v[48:49], s[16:17], v[74:75] op_sel_hi:[1,0,1]
	v_pk_fma_f32 v[50:51], v[48:49], s[16:17], v[46:47] op_sel_hi:[1,0,1]
	v_pk_add_f32 v[48:49], v[62:63], v[66:67]
	v_mov_b32_e32 v46, v64
	v_mov_b32_e32 v47, v73
	;; [unrolled: 1-line block ×3, first 2 shown]
	v_pk_add_f32 v[38:39], v[38:39], v[70:71]
	v_pk_fma_f32 v[46:47], v[48:49], s[16:17], v[46:47] op_sel_hi:[1,0,1]
	v_pk_fma_f32 v[48:49], v[48:49], s[16:17], v[72:73] op_sel_hi:[1,0,1]
	ds_write2_b64 v52, v[32:33], v[38:39] offset1:55
	ds_write2_b64 v52, v[34:35], v[44:45] offset0:110 offset1:165
	ds_write2_b64 v61, v[40:41], v[46:47] offset0:92 offset1:147
	;; [unrolled: 1-line block ×4, first 2 shown]
	s_waitcnt lgkmcnt(0)
	; wave barrier
	s_waitcnt lgkmcnt(0)
	s_and_saveexec_b64 s[0:1], s[2:3]
	s_cbranch_execz .LBB0_9
; %bb.8:
	v_mov_b32_e32 v53, 0
	v_lshl_add_u64 v[62:63], s[8:9], 0, v[52:53]
	v_add_co_u32_e32 v64, vcc, 0x1000, v62
	s_mov_b64 s[10:11], 0x1130
	s_nop 0
	v_addc_co_u32_e32 v65, vcc, 0, v63, vcc
	global_load_dwordx2 v[64:65], v[64:65], off offset:304
	v_lshl_add_u64 v[62:63], v[62:63], 0, s[10:11]
	global_load_dwordx2 v[82:83], v[62:63], off offset:400
	global_load_dwordx2 v[84:85], v[62:63], off offset:800
	;; [unrolled: 1-line block ×10, first 2 shown]
	ds_read_b64 v[62:63], v52
	s_waitcnt vmcnt(10) lgkmcnt(0)
	v_mul_f32_e32 v53, v63, v65
	v_mul_f32_e32 v67, v62, v65
	v_fma_f32 v66, v62, v64, -v53
	v_fmac_f32_e32 v67, v63, v64
	ds_write_b64 v52, v[66:67]
	ds_read2_b64 v[62:65], v52 offset0:50 offset1:100
	ds_read2_b64 v[66:69], v52 offset0:150 offset1:200
	;; [unrolled: 1-line block ×5, first 2 shown]
	s_waitcnt vmcnt(9) lgkmcnt(4)
	v_mul_f32_e32 v53, v63, v83
	v_mul_f32_e32 v105, v62, v83
	s_waitcnt vmcnt(8)
	v_mul_f32_e32 v106, v65, v85
	v_mul_f32_e32 v83, v64, v85
	s_waitcnt vmcnt(7) lgkmcnt(3)
	v_mul_f32_e32 v107, v67, v87
	v_mul_f32_e32 v85, v66, v87
	s_waitcnt vmcnt(6)
	v_mul_f32_e32 v108, v69, v89
	v_mul_f32_e32 v87, v68, v89
	;; [unrolled: 6-line block ×5, first 2 shown]
	v_fma_f32 v104, v62, v82, -v53
	v_fmac_f32_e32 v105, v63, v82
	v_fma_f32 v82, v64, v84, -v106
	v_fmac_f32_e32 v83, v65, v84
	;; [unrolled: 2-line block ×10, first 2 shown]
	ds_write2_b64 v52, v[104:105], v[82:83] offset0:50 offset1:100
	ds_write2_b64 v52, v[84:85], v[86:87] offset0:150 offset1:200
	ds_write2_b64 v61, v[88:89], v[90:91] offset0:122 offset1:172
	ds_write2_b64 v60, v[92:93], v[96:97] offset0:94 offset1:144
	ds_write2_b64 v60, v[98:99], v[100:101] offset0:194 offset1:244
.LBB0_9:
	s_or_b64 exec, exec, s[0:1]
	s_waitcnt lgkmcnt(0)
	; wave barrier
	s_waitcnt lgkmcnt(0)
	s_and_saveexec_b64 s[0:1], s[2:3]
	s_cbranch_execz .LBB0_11
; %bb.10:
	v_add_u32_e32 v48, 0x800, v52
	ds_read2_b64 v[32:35], v52 offset1:50
	ds_read2_b64 v[40:43], v52 offset0:100 offset1:150
	ds_read2_b64 v[36:39], v52 offset0:200 offset1:250
	;; [unrolled: 1-line block ×4, first 2 shown]
	ds_read_b64 v[58:59], v52 offset:4000
.LBB0_11:
	s_or_b64 exec, exec, s[0:1]
	v_mov_b32_e32 v92, v12
	v_mov_b32_e32 v93, v12
	;; [unrolled: 1-line block ×51, first 2 shown]
	s_waitcnt lgkmcnt(0)
	; wave barrier
	s_waitcnt lgkmcnt(0)
	s_and_saveexec_b64 s[0:1], s[2:3]
	s_cbranch_execz .LBB0_13
; %bb.12:
	v_pk_add_f32 v[96:97], v[34:35], v[32:33]
	v_pk_add_f32 v[98:99], v[58:59], v[34:35]
	;; [unrolled: 1-line block ×5, first 2 shown]
	s_mov_b32 s14, 0x3f575c64
	v_pk_add_f32 v[96:97], v[36:37], v[96:97]
	v_pk_add_f32 v[100:101], v[50:51], v[40:41]
	;; [unrolled: 1-line block ×3, first 2 shown]
	s_mov_b32 s30, 0xbf68dda4
	v_pk_add_f32 v[96:97], v[44:45], v[96:97]
	v_pk_add_f32 v[106:107], v[44:45], v[38:39]
	;; [unrolled: 1-line block ×3, first 2 shown]
	v_pk_add_f32 v[46:47], v[36:37], v[46:47] neg_lo:[0,1] neg_hi:[0,1]
	v_pk_add_f32 v[96:97], v[48:49], v[96:97]
	v_pk_add_f32 v[108:109], v[38:39], v[44:45] neg_lo:[0,1] neg_hi:[0,1]
	v_pk_add_f32 v[96:97], v[50:51], v[96:97]
	;; [unrolled: 2-line block ×3, first 2 shown]
	v_pk_add_f32 v[58:59], v[34:35], v[58:59] neg_lo:[0,1] neg_hi:[0,1]
	s_mov_b32 s10, 0x3ed4b147
	v_pk_mul_f32 v[36:37], v[58:59], s[24:25] op_sel_hi:[1,0]
	v_pk_mul_f32 v[40:41], v[50:51], s[30:31] op_sel_hi:[1,0]
	v_pk_fma_f32 v[34:35], v[98:99], s[14:15], v[36:37] op_sel:[0,0,1] op_sel_hi:[1,0,0]
	v_pk_fma_f32 v[36:37], v[98:99], s[14:15], v[36:37] op_sel:[0,0,1] op_sel_hi:[1,0,0] neg_lo:[0,0,1] neg_hi:[0,0,1]
	v_mov_b32_e32 v38, v34
	v_mov_b32_e32 v39, v37
	v_pk_add_f32 v[102:103], v[48:49], v[42:43]
	v_pk_add_f32 v[48:49], v[42:43], v[48:49] neg_lo:[0,1] neg_hi:[0,1]
	v_pk_add_f32 v[42:43], v[32:33], v[38:39]
	v_pk_fma_f32 v[38:39], v[100:101], s[10:11], v[40:41] op_sel:[0,0,1] op_sel_hi:[1,0,0]
	v_pk_fma_f32 v[40:41], v[100:101], s[10:11], v[40:41] op_sel:[0,0,1] op_sel_hi:[1,0,0] neg_lo:[0,0,1] neg_hi:[0,0,1]
	v_mov_b32_e32 v44, v38
	v_mov_b32_e32 v45, v41
	s_mov_b32 s18, 0xbf7d64f0
	v_pk_add_f32 v[110:111], v[44:45], v[42:43]
	s_mov_b32 s16, 0xbe11bafb
	v_pk_mul_f32 v[44:45], v[48:49], s[18:19] op_sel_hi:[1,0]
	s_mov_b32 s20, 0xbf27a4f4
	v_pk_fma_f32 v[42:43], v[102:103], s[16:17], v[44:45] op_sel:[0,0,1] op_sel_hi:[1,0,0]
	v_pk_fma_f32 v[44:45], v[102:103], s[16:17], v[44:45] op_sel:[0,0,1] op_sel_hi:[1,0,0] neg_lo:[0,0,1] neg_hi:[0,0,1]
	v_mov_b32_e32 v112, v42
	v_mov_b32_e32 v113, v45
	v_pk_add_f32 v[110:111], v[112:113], v[110:111]
	v_pk_mul_f32 v[112:113], v[46:47], s[22:23] op_sel_hi:[1,0]
	v_lshlrev_b32_e32 v53, 3, v94
	v_pk_fma_f32 v[114:115], v[104:105], s[20:21], v[112:113] op_sel:[0,0,1] op_sel_hi:[1,0,0]
	v_pk_fma_f32 v[112:113], v[104:105], s[20:21], v[112:113] op_sel:[0,0,1] op_sel_hi:[1,0,0] neg_lo:[0,0,1] neg_hi:[0,0,1]
	v_mov_b32_e32 v116, v114
	v_mov_b32_e32 v117, v113
	v_pk_add_f32 v[110:111], v[116:117], v[110:111]
	v_pk_mul_f32 v[116:117], v[108:109], s[28:29] op_sel_hi:[1,0]
	v_pk_mul_f32 v[122:123], v[50:51], s[22:23] op_sel_hi:[1,0]
	v_pk_fma_f32 v[118:119], v[106:107], s[26:27], v[116:117] op_sel:[0,0,1] op_sel_hi:[1,0,0]
	v_pk_fma_f32 v[116:117], v[106:107], s[26:27], v[116:117] op_sel:[0,0,1] op_sel_hi:[1,0,0] neg_lo:[0,0,1] neg_hi:[0,0,1]
	v_mov_b32_e32 v120, v118
	v_mov_b32_e32 v121, v117
	v_pk_add_f32 v[110:111], v[120:121], v[110:111]
	ds_write2_b64 v53, v[96:97], v[110:111] offset1:1
	v_pk_mul_f32 v[96:97], v[58:59], s[30:31] op_sel_hi:[1,0]
	v_pk_fma_f32 v[124:125], v[100:101], s[20:21], v[122:123] op_sel:[0,0,1] op_sel_hi:[1,0,0]
	v_pk_fma_f32 v[110:111], v[98:99], s[10:11], v[96:97] op_sel:[0,0,1] op_sel_hi:[1,0,0]
	v_pk_fma_f32 v[96:97], v[98:99], s[10:11], v[96:97] op_sel:[0,0,1] op_sel_hi:[1,0,0] neg_lo:[0,0,1] neg_hi:[0,0,1]
	v_mov_b32_e32 v120, v110
	v_mov_b32_e32 v121, v97
	v_pk_fma_f32 v[122:123], v[100:101], s[20:21], v[122:123] op_sel:[0,0,1] op_sel_hi:[1,0,0] neg_lo:[0,0,1] neg_hi:[0,0,1]
	v_pk_add_f32 v[120:121], v[32:33], v[120:121]
	v_mov_b32_e32 v126, v124
	v_mov_b32_e32 v127, v123
	s_mov_b32 s30, 0x3e903f40
	v_pk_add_f32 v[120:121], v[126:127], v[120:121]
	v_pk_mul_f32 v[126:127], v[48:49], s[30:31] op_sel_hi:[1,0]
	s_mov_b32 s34, 0x3f7d64f0
	v_pk_fma_f32 v[128:129], v[102:103], s[26:27], v[126:127] op_sel:[0,0,1] op_sel_hi:[1,0,0]
	v_pk_fma_f32 v[126:127], v[102:103], s[26:27], v[126:127] op_sel:[0,0,1] op_sel_hi:[1,0,0] neg_lo:[0,0,1] neg_hi:[0,0,1]
	v_mov_b32_e32 v130, v128
	v_mov_b32_e32 v131, v127
	v_pk_add_f32 v[120:121], v[130:131], v[120:121]
	v_pk_mul_f32 v[130:131], v[46:47], s[34:35] op_sel_hi:[1,0]
	s_mov_b32 s36, 0x3f0a6770
	v_pk_fma_f32 v[132:133], v[104:105], s[16:17], v[130:131] op_sel:[0,0,1] op_sel_hi:[1,0,0]
	v_pk_fma_f32 v[130:131], v[104:105], s[16:17], v[130:131] op_sel:[0,0,1] op_sel_hi:[1,0,0] neg_lo:[0,0,1] neg_hi:[0,0,1]
	v_mov_b32_e32 v134, v132
	v_mov_b32_e32 v135, v131
	v_pk_add_f32 v[120:121], v[134:135], v[120:121]
	v_pk_mul_f32 v[134:135], v[108:109], s[36:37] op_sel_hi:[1,0]
	v_pk_mul_f32 v[144:145], v[50:51], s[30:31] op_sel_hi:[1,0]
	v_pk_fma_f32 v[136:137], v[106:107], s[14:15], v[134:135] op_sel:[0,0,1] op_sel_hi:[1,0,0]
	v_pk_fma_f32 v[134:135], v[106:107], s[14:15], v[134:135] op_sel:[0,0,1] op_sel_hi:[1,0,0] neg_lo:[0,0,1] neg_hi:[0,0,1]
	v_mov_b32_e32 v138, v136
	v_mov_b32_e32 v139, v135
	v_pk_add_f32 v[120:121], v[138:139], v[120:121]
	v_pk_mul_f32 v[138:139], v[58:59], s[18:19] op_sel_hi:[1,0]
	v_pk_fma_f32 v[146:147], v[100:101], s[26:27], v[144:145] op_sel:[0,0,1] op_sel_hi:[1,0,0]
	v_pk_fma_f32 v[140:141], v[98:99], s[16:17], v[138:139] op_sel:[0,0,1] op_sel_hi:[1,0,0]
	v_pk_fma_f32 v[138:139], v[98:99], s[16:17], v[138:139] op_sel:[0,0,1] op_sel_hi:[1,0,0] neg_lo:[0,0,1] neg_hi:[0,0,1]
	v_mov_b32_e32 v142, v140
	v_mov_b32_e32 v143, v139
	v_pk_fma_f32 v[144:145], v[100:101], s[26:27], v[144:145] op_sel:[0,0,1] op_sel_hi:[1,0,0] neg_lo:[0,0,1] neg_hi:[0,0,1]
	v_pk_add_f32 v[142:143], v[32:33], v[142:143]
	v_mov_b32_e32 v148, v146
	v_mov_b32_e32 v149, v145
	s_mov_b32 s30, 0x3f68dda4
	v_pk_add_f32 v[142:143], v[148:149], v[142:143]
	v_pk_mul_f32 v[148:149], v[48:49], s[30:31] op_sel_hi:[1,0]
	v_pk_mul_f32 v[162:163], v[50:51], s[34:35] op_sel_hi:[1,0]
	v_pk_fma_f32 v[150:151], v[102:103], s[10:11], v[148:149] op_sel:[0,0,1] op_sel_hi:[1,0,0]
	v_pk_fma_f32 v[148:149], v[102:103], s[10:11], v[148:149] op_sel:[0,0,1] op_sel_hi:[1,0,0] neg_lo:[0,0,1] neg_hi:[0,0,1]
	v_mov_b32_e32 v152, v150
	v_mov_b32_e32 v153, v149
	v_pk_add_f32 v[142:143], v[152:153], v[142:143]
	v_pk_mul_f32 v[152:153], v[46:47], s[24:25] op_sel_hi:[1,0]
	v_pk_fma_f32 v[164:165], v[100:101], s[16:17], v[162:163] op_sel:[0,0,1] op_sel_hi:[1,0,0]
	v_pk_fma_f32 v[154:155], v[104:105], s[14:15], v[152:153] op_sel:[0,0,1] op_sel_hi:[1,0,0]
	v_pk_fma_f32 v[152:153], v[104:105], s[14:15], v[152:153] op_sel:[0,0,1] op_sel_hi:[1,0,0] neg_lo:[0,0,1] neg_hi:[0,0,1]
	v_mov_b32_e32 v156, v154
	v_mov_b32_e32 v157, v153
	v_pk_add_f32 v[142:143], v[156:157], v[142:143]
	v_pk_mul_f32 v[156:157], v[108:109], s[22:23] op_sel_hi:[1,0]
	v_pk_fma_f32 v[162:163], v[100:101], s[16:17], v[162:163] op_sel:[0,0,1] op_sel_hi:[1,0,0] neg_lo:[0,0,1] neg_hi:[0,0,1]
	v_pk_fma_f32 v[158:159], v[106:107], s[20:21], v[156:157] op_sel:[0,0,1] op_sel_hi:[1,0,0]
	v_pk_fma_f32 v[156:157], v[106:107], s[20:21], v[156:157] op_sel:[0,0,1] op_sel_hi:[1,0,0] neg_lo:[0,0,1] neg_hi:[0,0,1]
	v_mov_b32_e32 v160, v158
	v_mov_b32_e32 v161, v157
	v_pk_add_f32 v[142:143], v[160:161], v[142:143]
	ds_write2_b64 v53, v[120:121], v[142:143] offset0:2 offset1:3
	v_pk_mul_f32 v[120:121], v[58:59], s[22:23] op_sel_hi:[1,0]
	v_mov_b32_e32 v166, v164
	v_pk_fma_f32 v[142:143], v[98:99], s[20:21], v[120:121] op_sel:[0,0,1] op_sel_hi:[1,0,0]
	v_pk_fma_f32 v[120:121], v[98:99], s[20:21], v[120:121] op_sel:[0,0,1] op_sel_hi:[1,0,0] neg_lo:[0,0,1] neg_hi:[0,0,1]
	v_mov_b32_e32 v160, v142
	v_mov_b32_e32 v161, v121
	v_pk_add_f32 v[160:161], v[32:33], v[160:161]
	v_mov_b32_e32 v167, v163
	v_pk_add_f32 v[160:161], v[166:167], v[160:161]
	v_pk_mul_f32 v[166:167], v[48:49], s[24:25] op_sel_hi:[1,0]
	v_pk_mul_f32 v[58:59], v[58:59], s[28:29] op_sel_hi:[1,0]
	v_pk_fma_f32 v[168:169], v[102:103], s[14:15], v[166:167] op_sel:[0,0,1] op_sel_hi:[1,0,0]
	v_pk_fma_f32 v[166:167], v[102:103], s[14:15], v[166:167] op_sel:[0,0,1] op_sel_hi:[1,0,0] neg_lo:[0,0,1] neg_hi:[0,0,1]
	v_mov_b32_e32 v170, v168
	v_mov_b32_e32 v171, v167
	v_pk_add_f32 v[160:161], v[170:171], v[160:161]
	v_pk_mul_f32 v[170:171], v[46:47], s[28:29] op_sel_hi:[1,0]
	v_pk_mul_f32 v[50:51], v[50:51], s[36:37] op_sel_hi:[1,0]
	v_pk_fma_f32 v[172:173], v[104:105], s[26:27], v[170:171] op_sel:[0,0,1] op_sel_hi:[1,0,0]
	v_pk_fma_f32 v[170:171], v[104:105], s[26:27], v[170:171] op_sel:[0,0,1] op_sel_hi:[1,0,0] neg_lo:[0,0,1] neg_hi:[0,0,1]
	v_mov_b32_e32 v174, v172
	v_mov_b32_e32 v175, v171
	v_pk_add_f32 v[160:161], v[174:175], v[160:161]
	v_pk_mul_f32 v[174:175], v[108:109], s[30:31] op_sel_hi:[1,0]
	v_pk_fma_f32 v[180:181], v[100:101], s[14:15], v[50:51] op_sel:[0,0,1] op_sel_hi:[1,0,0]
	v_pk_fma_f32 v[176:177], v[106:107], s[10:11], v[174:175] op_sel:[0,0,1] op_sel_hi:[1,0,0]
	v_pk_fma_f32 v[174:175], v[106:107], s[10:11], v[174:175] op_sel:[0,0,1] op_sel_hi:[1,0,0] neg_lo:[0,0,1] neg_hi:[0,0,1]
	v_mov_b32_e32 v178, v176
	v_mov_b32_e32 v179, v175
	v_pk_add_f32 v[160:161], v[178:179], v[160:161]
	v_pk_fma_f32 v[178:179], v[98:99], s[26:27], v[58:59] op_sel:[0,0,1] op_sel_hi:[1,0,0]
	v_pk_fma_f32 v[58:59], v[98:99], s[26:27], v[58:59] op_sel:[0,0,1] op_sel_hi:[1,0,0] neg_lo:[0,0,1] neg_hi:[0,0,1]
	v_mov_b32_e32 v98, v178
	v_mov_b32_e32 v99, v59
	v_pk_fma_f32 v[50:51], v[100:101], s[14:15], v[50:51] op_sel:[0,0,1] op_sel_hi:[1,0,0] neg_lo:[0,0,1] neg_hi:[0,0,1]
	v_pk_add_f32 v[98:99], v[32:33], v[98:99]
	v_mov_b32_e32 v100, v180
	v_mov_b32_e32 v101, v51
	v_pk_mul_f32 v[48:49], v[48:49], s[22:23] op_sel_hi:[1,0]
	v_pk_add_f32 v[98:99], v[100:101], v[98:99]
	v_pk_fma_f32 v[100:101], v[102:103], s[20:21], v[48:49] op_sel:[0,0,1] op_sel_hi:[1,0,0]
	v_pk_fma_f32 v[48:49], v[102:103], s[20:21], v[48:49] op_sel:[0,0,1] op_sel_hi:[1,0,0] neg_lo:[0,0,1] neg_hi:[0,0,1]
	v_mov_b32_e32 v59, v179
	v_mov_b32_e32 v102, v100
	;; [unrolled: 1-line block ×3, first 2 shown]
	v_pk_mul_f32 v[46:47], v[46:47], s[30:31] op_sel_hi:[1,0]
	v_pk_add_f32 v[58:59], v[32:33], v[58:59]
	v_mov_b32_e32 v51, v181
	v_pk_add_f32 v[98:99], v[102:103], v[98:99]
	v_pk_fma_f32 v[102:103], v[104:105], s[10:11], v[46:47] op_sel:[0,0,1] op_sel_hi:[1,0,0]
	v_pk_fma_f32 v[46:47], v[104:105], s[10:11], v[46:47] op_sel:[0,0,1] op_sel_hi:[1,0,0] neg_lo:[0,0,1] neg_hi:[0,0,1]
	v_pk_add_f32 v[50:51], v[50:51], v[58:59]
	v_mov_b32_e32 v49, v101
	v_mov_b32_e32 v105, v47
	v_pk_add_f32 v[48:49], v[48:49], v[50:51]
	v_mov_b32_e32 v47, v103
	v_mov_b32_e32 v121, v143
	;; [unrolled: 1-line block ×3, first 2 shown]
	v_pk_add_f32 v[46:47], v[46:47], v[48:49]
	v_pk_add_f32 v[48:49], v[32:33], v[120:121]
	v_mov_b32_e32 v163, v165
	v_pk_add_f32 v[98:99], v[104:105], v[98:99]
	v_pk_mul_f32 v[104:105], v[108:109], s[18:19] op_sel_hi:[1,0]
	v_pk_add_f32 v[48:49], v[162:163], v[48:49]
	v_mov_b32_e32 v167, v169
	v_pk_fma_f32 v[108:109], v[106:107], s[16:17], v[104:105] op_sel:[0,0,1] op_sel_hi:[1,0,0]
	v_pk_fma_f32 v[104:105], v[106:107], s[16:17], v[104:105] op_sel:[0,0,1] op_sel_hi:[1,0,0] neg_lo:[0,0,1] neg_hi:[0,0,1]
	v_pk_add_f32 v[48:49], v[166:167], v[48:49]
	v_mov_b32_e32 v171, v173
	v_mov_b32_e32 v107, v105
	;; [unrolled: 1-line block ×3, first 2 shown]
	v_pk_add_f32 v[48:49], v[170:171], v[48:49]
	v_mov_b32_e32 v175, v177
	v_pk_add_f32 v[46:47], v[104:105], v[46:47]
	v_pk_add_f32 v[48:49], v[174:175], v[48:49]
	v_mov_b32_e32 v139, v141
	v_mov_b32_e32 v97, v111
	;; [unrolled: 1-line block ×3, first 2 shown]
	ds_write2_b64 v53, v[46:47], v[48:49] offset0:6 offset1:7
	v_pk_add_f32 v[46:47], v[32:33], v[138:139]
	v_mov_b32_e32 v145, v147
	v_pk_add_f32 v[48:49], v[32:33], v[96:97]
	v_mov_b32_e32 v123, v125
	;; [unrolled: 2-line block ×9, first 2 shown]
	v_mov_b32_e32 v106, v108
	v_pk_add_f32 v[46:47], v[152:153], v[46:47]
	v_mov_b32_e32 v157, v159
	v_pk_add_f32 v[48:49], v[130:131], v[48:49]
	;; [unrolled: 2-line block ×4, first 2 shown]
	v_pk_add_f32 v[46:47], v[156:157], v[46:47]
	v_pk_add_f32 v[48:49], v[134:135], v[48:49]
	;; [unrolled: 1-line block ×3, first 2 shown]
	ds_write2_b64 v53, v[160:161], v[98:99] offset0:4 offset1:5
	ds_write2_b64 v53, v[46:47], v[48:49] offset0:8 offset1:9
	ds_write_b64 v53, v[32:33] offset:80
.LBB0_13:
	s_or_b64 exec, exec, s[0:1]
	v_add_u32_e32 v33, 0x400, v52
	v_add_u32_e32 v32, 0x800, v52
	s_waitcnt lgkmcnt(0)
	; wave barrier
	s_waitcnt lgkmcnt(0)
	ds_read2_b64 v[34:37], v52 offset1:55
	ds_read2_b64 v[38:41], v52 offset0:110 offset1:165
	ds_read2_b64 v[42:45], v33 offset0:92 offset1:147
	;; [unrolled: 1-line block ×4, first 2 shown]
	s_mov_b32 s0, 0x3e9e377a
	s_waitcnt lgkmcnt(4)
	v_pk_mul_f32 v[12:13], v[12:13], v[36:37]
	s_waitcnt lgkmcnt(3)
	v_pk_mul_f32 v[14:15], v[14:15], v[38:39]
	;; [unrolled: 2-line block ×4, first 2 shown]
	v_pk_fma_f32 v[50:51], v[92:93], v[36:37], v[12:13] op_sel:[0,0,1] op_sel_hi:[1,1,0]
	v_pk_fma_f32 v[12:13], v[92:93], v[36:37], v[12:13] op_sel:[0,0,1] op_sel_hi:[1,1,0] neg_lo:[0,0,1] neg_hi:[0,0,1]
	v_pk_fma_f32 v[36:37], v[90:91], v[38:39], v[14:15] op_sel:[0,0,1] op_sel_hi:[1,1,0]
	v_pk_fma_f32 v[14:15], v[90:91], v[38:39], v[14:15] op_sel:[0,0,1] op_sel_hi:[1,1,0] neg_lo:[0,0,1] neg_hi:[0,0,1]
	v_pk_mul_f32 v[8:9], v[8:9], v[40:41]
	v_pk_fma_f32 v[38:39], v[86:87], v[42:43], v[10:11] op_sel:[0,0,1] op_sel_hi:[1,1,0]
	v_pk_fma_f32 v[10:11], v[86:87], v[42:43], v[10:11] op_sel:[0,0,1] op_sel_hi:[1,1,0] neg_lo:[0,0,1] neg_hi:[0,0,1]
	v_pk_mul_f32 v[6:7], v[6:7], v[46:47]
	v_pk_fma_f32 v[42:43], v[78:79], v[96:97], v[2:3] op_sel:[0,0,1] op_sel_hi:[1,1,0]
	v_pk_fma_f32 v[2:3], v[78:79], v[96:97], v[2:3] op_sel:[0,0,1] op_sel_hi:[1,1,0] neg_lo:[0,0,1] neg_hi:[0,0,1]
	v_mov_b32_e32 v37, v15
	v_pk_fma_f32 v[14:15], v[88:89], v[40:41], v[8:9] op_sel:[0,0,1] op_sel_hi:[1,1,0]
	v_pk_fma_f32 v[8:9], v[88:89], v[40:41], v[8:9] op_sel:[0,0,1] op_sel_hi:[1,1,0] neg_lo:[0,0,1] neg_hi:[0,0,1]
	v_pk_mul_f32 v[4:5], v[4:5], v[44:45]
	v_pk_fma_f32 v[40:41], v[82:83], v[46:47], v[6:7] op_sel:[0,0,1] op_sel_hi:[1,1,0]
	v_pk_fma_f32 v[6:7], v[82:83], v[46:47], v[6:7] op_sel:[0,0,1] op_sel_hi:[1,1,0] neg_lo:[0,0,1] neg_hi:[0,0,1]
	v_pk_mul_f32 v[0:1], v[0:1], v[48:49]
	v_mov_b32_e32 v43, v3
	v_pk_mul_f32 v[2:3], v[56:57], v[98:99]
	v_mov_b32_e32 v39, v11
	v_pk_fma_f32 v[10:11], v[84:85], v[44:45], v[4:5] op_sel:[0,0,1] op_sel_hi:[1,1,0]
	v_pk_fma_f32 v[4:5], v[84:85], v[44:45], v[4:5] op_sel:[0,0,1] op_sel_hi:[1,1,0] neg_lo:[0,0,1] neg_hi:[0,0,1]
	v_mov_b32_e32 v41, v7
	v_pk_fma_f32 v[6:7], v[80:81], v[48:49], v[0:1] op_sel:[0,0,1] op_sel_hi:[1,1,0]
	v_pk_fma_f32 v[44:45], v[76:77], v[98:99], v[2:3] op_sel:[0,0,1] op_sel_hi:[1,1,0]
	v_pk_fma_f32 v[2:3], v[76:77], v[98:99], v[2:3] op_sel:[0,0,1] op_sel_hi:[1,1,0] neg_lo:[0,0,1] neg_hi:[0,0,1]
	v_mov_b32_e32 v76, v14
	v_mov_b32_e32 v77, v44
	;; [unrolled: 1-line block ×4, first 2 shown]
	v_pk_fma_f32 v[0:1], v[80:81], v[48:49], v[0:1] op_sel:[0,0,1] op_sel_hi:[1,1,0] neg_lo:[0,0,1] neg_hi:[0,0,1]
	v_pk_add_f32 v[80:81], v[76:77], v[78:79] neg_lo:[0,1] neg_hi:[0,1]
	v_mov_b32_e32 v11, v5
	v_mov_b32_e32 v7, v1
	;; [unrolled: 1-line block ×5, first 2 shown]
	v_pk_add_f32 v[48:49], v[10:11], v[6:7]
	v_pk_add_f32 v[58:59], v[10:11], v[6:7] neg_lo:[0,1] neg_hi:[0,1]
	v_pk_add_f32 v[80:81], v[80:81], v[0:1]
	v_fma_f32 v2, -0.5, v48, v50
	v_pk_add_f32 v[56:57], v[14:15], v[44:45] neg_lo:[0,1] neg_hi:[0,1]
	v_mov_b32_e32 v81, v59
	s_mov_b32 s1, 0x3f167918
	v_fmamk_f32 v4, v57, 0xbf737871, v2
	v_pk_mul_f32 v[80:81], v[80:81], s[0:1]
	v_fmac_f32_e32 v2, 0x3f737871, v57
	v_sub_f32_e32 v0, v4, v81
	v_add_f32_e32 v4, v80, v0
	v_add_f32_e32 v0, v81, v2
	v_pk_add_f32 v[76:77], v[78:79], v[76:77] neg_lo:[0,1] neg_hi:[0,1]
	v_add_f32_e32 v8, v80, v0
	v_mov_b32_e32 v0, v77
	v_pk_add_f32 v[80:81], v[14:15], v[44:45]
	v_mov_b32_e32 v2, v50
	v_pk_add_f32 v[76:77], v[76:77], v[0:1]
	v_fmac_f32_e32 v2, -0.5, v80
	v_mov_b32_e32 v77, v57
	v_fmamk_f32 v12, v59, 0x3f737871, v2
	v_pk_mul_f32 v[76:77], v[76:77], s[0:1]
	v_mov_b32_e32 v51, v13
	v_sub_f32_e32 v0, v12, v77
	v_fmac_f32_e32 v2, 0xbf737871, v59
	v_add_f32_e32 v12, v76, v0
	v_add_f32_e32 v0, v77, v2
	v_pk_add_f32 v[14:15], v[50:51], v[14:15]
	v_add_f32_e32 v48, v76, v0
	v_pk_add_f32 v[10:11], v[14:15], v[10:11]
	v_mov_b32_e32 v2, v9
	v_mov_b32_e32 v0, v5
	v_pk_add_f32 v[6:7], v[10:11], v[6:7]
	v_pk_add_f32 v[10:11], v[2:3], v[0:1] neg_lo:[0,1] neg_hi:[0,1]
	v_fma_f32 v15, -0.5, v49, v13
	v_mov_b32_e32 v14, v11
	v_pk_add_f32 v[10:11], v[10:11], v[14:15]
	v_pk_add_f32 v[0:1], v[0:1], v[2:3] neg_lo:[0,1] neg_hi:[0,1]
	v_mov_b32_e32 v11, v58
	v_pk_add_f32 v[6:7], v[6:7], v[44:45]
	v_fmamk_f32 v44, v56, 0x3f737871, v15
	v_pk_mul_f32 v[10:11], v[10:11], s[0:1]
	v_mov_b32_e32 v2, v1
	v_add_f32_e32 v5, v11, v44
	v_fmac_f32_e32 v15, 0xbf737871, v56
	v_pk_add_f32 v[0:1], v[0:1], v[2:3]
	s_mov_b32 s10, 0x3f737871
	v_add_f32_e32 v14, v10, v5
	v_sub_f32_e32 v5, v15, v11
	v_fmac_f32_e32 v13, -0.5, v81
	v_mov_b32_e32 v1, v56
	v_pk_add_f32 v[50:51], v[38:39], v[40:41]
	v_pk_add_f32 v[56:57], v[36:37], v[42:43] neg_lo:[0,1] neg_hi:[0,1]
	v_add_f32_e32 v10, v10, v5
	v_fmamk_f32 v5, v58, 0xbf737871, v13
	v_fmac_f32_e32 v13, 0x3f737871, v58
	v_pk_fma_f32 v[50:51], v[50:51], 0.5, v[34:35] op_sel_hi:[1,0,1] neg_lo:[1,0,0] neg_hi:[1,0,0]
	v_pk_mul_f32 v[58:59], v[56:57], s[10:11] op_sel_hi:[1,0]
	v_pk_add_f32 v[76:77], v[38:39], v[40:41] neg_lo:[0,1] neg_hi:[0,1]
	s_mov_b32 s14, s1
	v_pk_add_f32 v[80:81], v[36:37], v[38:39] neg_lo:[0,1] neg_hi:[0,1]
	v_pk_add_f32 v[82:83], v[42:43], v[40:41] neg_lo:[0,1] neg_hi:[0,1]
	s_mov_b32 s16, 0x3f4f1bbd
	v_pk_add_f32 v[46:47], v[34:35], v[36:37]
	v_pk_mul_f32 v[78:79], v[76:77], s[14:15] op_sel_hi:[1,0]
	v_pk_add_f32 v[80:81], v[80:81], v[82:83]
	v_pk_add_f32 v[82:83], v[50:51], v[58:59] op_sel:[0,1] op_sel_hi:[1,0] neg_lo:[0,1] neg_hi:[0,1]
	v_pk_add_f32 v[50:51], v[50:51], v[58:59] op_sel:[0,1] op_sel_hi:[1,0]
	s_mov_b32 s18, s1
	s_mov_b32 s19, s16
	v_pk_add_f32 v[46:47], v[46:47], v[38:39]
	v_pk_mul_f32 v[0:1], v[0:1], s[0:1]
	v_pk_add_f32 v[50:51], v[50:51], v[78:79] op_sel:[0,1] op_sel_hi:[1,0]
	v_pk_add_f32 v[58:59], v[82:83], v[78:79] op_sel:[0,1] op_sel_hi:[1,0] neg_lo:[0,1] neg_hi:[0,1]
	s_mov_b32 s17, s1
	v_pk_mul_f32 v[14:15], v[14:15], s[18:19] op_sel_hi:[0,1]
	v_pk_add_f32 v[46:47], v[46:47], v[40:41]
	v_add_f32_e32 v2, v1, v5
	v_mov_b32_e32 v78, v58
	v_mov_b32_e32 v79, v51
	v_pk_fma_f32 v[82:83], v[4:5], s[16:17], v[14:15] neg_lo:[0,0,1] neg_hi:[0,0,1]
	v_pk_fma_f32 v[4:5], v[4:5], s[16:17], v[14:15] op_sel_hi:[0,1,1]
	v_pk_add_f32 v[46:47], v[46:47], v[42:43]
	v_pk_fma_f32 v[78:79], v[80:81], s[0:1], v[78:79] op_sel_hi:[1,0,1]
	v_mov_b32_e32 v83, v5
	v_pk_add_f32 v[44:45], v[46:47], v[6:7]
	v_pk_add_f32 v[4:5], v[78:79], v[82:83]
	v_add_f32_e32 v2, v0, v2
	s_waitcnt lgkmcnt(0)
	; wave barrier
	ds_write2_b64 v95, v[44:45], v[4:5] offset1:11
	v_pk_add_f32 v[4:5], v[36:37], v[42:43]
	s_mov_b32 s11, s0
	v_pk_fma_f32 v[4:5], v[4:5], 0.5, v[34:35] op_sel_hi:[1,0,1] neg_lo:[1,0,0] neg_hi:[1,0,0]
	v_pk_add_f32 v[14:15], v[38:39], v[36:37] neg_lo:[0,1] neg_hi:[0,1]
	v_pk_add_f32 v[34:35], v[40:41], v[42:43] neg_lo:[0,1] neg_hi:[0,1]
	s_mov_b32 s16, s0
	s_mov_b32 s17, s10
	v_pk_mul_f32 v[2:3], v[2:3], s[10:11] op_sel_hi:[0,1]
	v_pk_add_f32 v[14:15], v[14:15], v[34:35]
	v_pk_fma_f32 v[34:35], v[12:13], s[16:17], v[2:3] neg_lo:[0,0,1] neg_hi:[0,0,1]
	v_pk_fma_f32 v[2:3], v[12:13], s[16:17], v[2:3] op_sel_hi:[0,1,1]
	v_mov_b32_e32 v35, v3
	v_pk_mul_f32 v[2:3], v[76:77], s[10:11] op_sel_hi:[1,0]
	v_sub_f32_e32 v1, v13, v1
	v_pk_mul_f32 v[12:13], v[56:57], s[14:15] op_sel_hi:[1,0]
	v_pk_add_f32 v[36:37], v[4:5], v[2:3] op_sel:[0,1] op_sel_hi:[1,0]
	v_pk_add_f32 v[2:3], v[4:5], v[2:3] op_sel:[0,1] op_sel_hi:[1,0] neg_lo:[0,1] neg_hi:[0,1]
	v_add_f32_e32 v0, v0, v1
	v_pk_add_f32 v[2:3], v[2:3], v[12:13] op_sel:[0,1] op_sel_hi:[1,0]
	v_pk_add_f32 v[4:5], v[36:37], v[12:13] op_sel:[0,1] op_sel_hi:[1,0] neg_lo:[0,1] neg_hi:[0,1]
	v_mov_b32_e32 v13, v3
	v_mov_b32_e32 v12, v4
	s_mov_b32 s16, 0xbe9e377a
	v_pk_mul_f32 v[0:1], v[0:1], s[10:11] op_sel_hi:[0,1]
	v_mov_b32_e32 v3, v5
	v_pk_fma_f32 v[12:13], v[14:15], s[0:1], v[12:13] op_sel_hi:[1,0,1]
	v_pk_fma_f32 v[0:1], v[48:49], s[16:17], v[0:1] op_sel_hi:[0,1,1] neg_lo:[0,0,1] neg_hi:[0,0,1]
	v_pk_fma_f32 v[2:3], v[14:15], s[0:1], v[2:3] op_sel_hi:[1,0,1]
	v_pk_add_f32 v[36:37], v[12:13], v[34:35]
	v_pk_add_f32 v[4:5], v[2:3], v[0:1]
	ds_write2_b64 v95, v[36:37], v[4:5] offset0:22 offset1:33
	s_mov_b32 s16, 0xbf4f1bbd
	s_mov_b32 s17, s1
	v_pk_mul_f32 v[4:5], v[10:11], s[18:19] op_sel_hi:[0,1]
	v_mov_b32_e32 v51, v59
	v_pk_fma_f32 v[4:5], v[8:9], s[16:17], v[4:5] op_sel_hi:[0,1,1] neg_lo:[0,0,1] neg_hi:[0,0,1]
	v_pk_fma_f32 v[8:9], v[80:81], s[0:1], v[50:51] op_sel_hi:[1,0,1]
	v_pk_add_f32 v[6:7], v[46:47], v[6:7] neg_lo:[0,1] neg_hi:[0,1]
	v_pk_add_f32 v[10:11], v[8:9], v[4:5]
	ds_write2_b64 v95, v[10:11], v[6:7] offset0:44 offset1:55
	v_pk_add_f32 v[6:7], v[78:79], v[82:83] neg_lo:[0,1] neg_hi:[0,1]
	v_pk_add_f32 v[10:11], v[12:13], v[34:35] neg_lo:[0,1] neg_hi:[0,1]
	;; [unrolled: 1-line block ×4, first 2 shown]
	ds_write2_b64 v95, v[6:7], v[10:11] offset0:66 offset1:77
	ds_write2_b64 v95, v[0:1], v[2:3] offset0:88 offset1:99
	s_waitcnt lgkmcnt(0)
	; wave barrier
	s_waitcnt lgkmcnt(0)
	ds_read2_b64 v[0:3], v52 offset0:110 offset1:165
	ds_read2_b64 v[4:7], v52 offset1:55
	ds_read2_b64 v[8:11], v33 offset0:92 offset1:147
	ds_read2_b64 v[12:15], v32 offset0:74 offset1:129
	;; [unrolled: 1-line block ×3, first 2 shown]
	s_waitcnt lgkmcnt(4)
	v_pk_mul_f32 v[28:29], v[28:29], v[0:1]
	v_pk_mul_f32 v[20:21], v[20:21], v[2:3]
	v_pk_fma_f32 v[38:39], v[74:75], v[0:1], v[28:29] op_sel:[0,0,1] op_sel_hi:[1,1,0]
	v_pk_fma_f32 v[0:1], v[74:75], v[0:1], v[28:29] op_sel:[0,0,1] op_sel_hi:[1,1,0] neg_lo:[0,0,1] neg_hi:[0,0,1]
	s_nop 0
	v_mov_b32_e32 v39, v1
	s_waitcnt lgkmcnt(2)
	v_pk_mul_f32 v[0:1], v[30:31], v[8:9]
	s_nop 0
	v_pk_fma_f32 v[28:29], v[72:73], v[8:9], v[0:1] op_sel:[0,0,1] op_sel_hi:[1,1,0]
	v_pk_fma_f32 v[0:1], v[72:73], v[8:9], v[0:1] op_sel:[0,0,1] op_sel_hi:[1,1,0] neg_lo:[0,0,1] neg_hi:[0,0,1]
	s_nop 0
	v_mov_b32_e32 v29, v1
	s_waitcnt lgkmcnt(1)
	v_pk_mul_f32 v[0:1], v[24:25], v[12:13]
	v_pk_fma_f32 v[24:25], v[66:67], v[2:3], v[20:21] op_sel:[0,0,1] op_sel_hi:[1,1,0]
	v_pk_fma_f32 v[2:3], v[66:67], v[2:3], v[20:21] op_sel:[0,0,1] op_sel_hi:[1,1,0] neg_lo:[0,0,1] neg_hi:[0,0,1]
	v_pk_fma_f32 v[8:9], v[70:71], v[12:13], v[0:1] op_sel:[0,0,1] op_sel_hi:[1,1,0]
	v_pk_fma_f32 v[0:1], v[70:71], v[12:13], v[0:1] op_sel:[0,0,1] op_sel_hi:[1,1,0] neg_lo:[0,0,1] neg_hi:[0,0,1]
	v_mov_b32_e32 v25, v3
	v_pk_mul_f32 v[2:3], v[22:23], v[10:11]
	v_mov_b32_e32 v9, v1
	s_waitcnt lgkmcnt(0)
	v_pk_mul_f32 v[0:1], v[26:27], v[34:35]
	v_pk_fma_f32 v[20:21], v[64:65], v[10:11], v[2:3] op_sel:[0,0,1] op_sel_hi:[1,1,0]
	v_pk_fma_f32 v[2:3], v[64:65], v[10:11], v[2:3] op_sel:[0,0,1] op_sel_hi:[1,1,0] neg_lo:[0,0,1] neg_hi:[0,0,1]
	v_pk_fma_f32 v[12:13], v[68:69], v[34:35], v[0:1] op_sel:[0,0,1] op_sel_hi:[1,1,0]
	v_pk_fma_f32 v[0:1], v[68:69], v[34:35], v[0:1] op_sel:[0,0,1] op_sel_hi:[1,1,0] neg_lo:[0,0,1] neg_hi:[0,0,1]
	v_mov_b32_e32 v21, v3
	v_pk_mul_f32 v[2:3], v[16:17], v[14:15]
	v_mov_b32_e32 v13, v1
	v_pk_fma_f32 v[10:11], v[62:63], v[14:15], v[2:3] op_sel:[0,0,1] op_sel_hi:[1,1,0]
	v_pk_fma_f32 v[2:3], v[62:63], v[14:15], v[2:3] op_sel:[0,0,1] op_sel_hi:[1,1,0] neg_lo:[0,0,1] neg_hi:[0,0,1]
	v_pk_add_f32 v[16:17], v[28:29], v[8:9]
	v_mov_b32_e32 v11, v3
	v_pk_mul_f32 v[2:3], v[18:19], v[36:37]
	v_pk_add_f32 v[18:19], v[38:39], v[12:13] neg_lo:[0,1] neg_hi:[0,1]
	v_pk_add_f32 v[0:1], v[4:5], v[38:39]
	v_pk_fma_f32 v[14:15], v[60:61], v[36:37], v[2:3] op_sel:[0,0,1] op_sel_hi:[1,1,0]
	v_pk_fma_f32 v[2:3], v[60:61], v[36:37], v[2:3] op_sel:[0,0,1] op_sel_hi:[1,1,0] neg_lo:[0,0,1] neg_hi:[0,0,1]
	v_pk_fma_f32 v[16:17], v[16:17], 0.5, v[4:5] op_sel_hi:[1,0,1] neg_lo:[1,0,0] neg_hi:[1,0,0]
	v_pk_mul_f32 v[22:23], v[18:19], s[10:11] op_sel_hi:[1,0]
	v_pk_add_f32 v[26:27], v[28:29], v[8:9] neg_lo:[0,1] neg_hi:[0,1]
	v_pk_add_f32 v[34:35], v[38:39], v[28:29] neg_lo:[0,1] neg_hi:[0,1]
	;; [unrolled: 1-line block ×3, first 2 shown]
	v_pk_add_f32 v[0:1], v[0:1], v[28:29]
	v_pk_mul_f32 v[30:31], v[26:27], s[14:15] op_sel_hi:[1,0]
	v_pk_add_f32 v[34:35], v[34:35], v[36:37]
	v_pk_add_f32 v[36:37], v[16:17], v[22:23] op_sel:[0,1] op_sel_hi:[1,0] neg_lo:[0,1] neg_hi:[0,1]
	v_pk_add_f32 v[0:1], v[0:1], v[8:9]
	v_mov_b32_e32 v15, v3
	v_pk_add_f32 v[2:3], v[6:7], v[24:25]
	v_pk_add_f32 v[16:17], v[16:17], v[22:23] op_sel:[0,1] op_sel_hi:[1,0]
	v_pk_add_f32 v[22:23], v[36:37], v[30:31] op_sel:[0,1] op_sel_hi:[1,0] neg_lo:[0,1] neg_hi:[0,1]
	v_pk_add_f32 v[36:37], v[38:39], v[12:13]
	v_pk_add_f32 v[0:1], v[0:1], v[12:13]
	;; [unrolled: 1-line block ×3, first 2 shown]
	v_pk_fma_f32 v[4:5], v[36:37], 0.5, v[4:5] op_sel_hi:[1,0,1] neg_lo:[1,0,0] neg_hi:[1,0,0]
	v_pk_add_f32 v[8:9], v[8:9], v[12:13] neg_lo:[0,1] neg_hi:[0,1]
	v_pk_mul_f32 v[12:13], v[26:27], s[10:11] op_sel_hi:[1,0]
	v_pk_add_f32 v[2:3], v[2:3], v[10:11]
	v_pk_mul_f32 v[18:19], v[18:19], s[14:15] op_sel_hi:[1,0]
	v_pk_add_f32 v[26:27], v[4:5], v[12:13] op_sel:[0,1] op_sel_hi:[1,0]
	v_pk_add_f32 v[4:5], v[4:5], v[12:13] op_sel:[0,1] op_sel_hi:[1,0] neg_lo:[0,1] neg_hi:[0,1]
	v_pk_add_f32 v[2:3], v[2:3], v[14:15]
	v_pk_add_f32 v[16:17], v[16:17], v[30:31] op_sel:[0,1] op_sel_hi:[1,0]
	v_pk_add_f32 v[28:29], v[28:29], v[38:39] neg_lo:[0,1] neg_hi:[0,1]
	v_pk_add_f32 v[4:5], v[4:5], v[18:19] op_sel:[0,1] op_sel_hi:[1,0]
	v_pk_add_f32 v[12:13], v[26:27], v[18:19] op_sel:[0,1] op_sel_hi:[1,0] neg_lo:[0,1] neg_hi:[0,1]
	v_mov_b32_e32 v31, v17
	v_pk_add_f32 v[8:9], v[28:29], v[8:9]
	v_mov_b32_e32 v18, v12
	v_mov_b32_e32 v19, v5
	;; [unrolled: 1-line block ×4, first 2 shown]
	ds_write2_b64 v52, v[0:1], v[2:3] offset1:55
	v_pk_add_f32 v[0:1], v[20:21], v[10:11]
	v_pk_add_f32 v[2:3], v[24:25], v[14:15] neg_lo:[0,1] neg_hi:[0,1]
	v_pk_fma_f32 v[18:19], v[8:9], s[0:1], v[18:19] op_sel_hi:[1,0,1]
	v_pk_fma_f32 v[4:5], v[8:9], s[0:1], v[4:5] op_sel_hi:[1,0,1]
	;; [unrolled: 1-line block ×3, first 2 shown]
	v_pk_fma_f32 v[0:1], v[0:1], 0.5, v[6:7] op_sel_hi:[1,0,1] neg_lo:[1,0,0] neg_hi:[1,0,0]
	v_pk_mul_f32 v[12:13], v[2:3], s[10:11] op_sel_hi:[1,0]
	v_pk_add_f32 v[16:17], v[20:21], v[10:11] neg_lo:[0,1] neg_hi:[0,1]
	v_pk_add_f32 v[26:27], v[24:25], v[20:21] neg_lo:[0,1] neg_hi:[0,1]
	;; [unrolled: 1-line block ×3, first 2 shown]
	v_mov_b32_e32 v30, v22
	v_pk_mul_f32 v[22:23], v[16:17], s[14:15] op_sel_hi:[1,0]
	v_pk_add_f32 v[26:27], v[26:27], v[28:29]
	v_pk_add_f32 v[28:29], v[0:1], v[12:13] op_sel:[0,1] op_sel_hi:[1,0] neg_lo:[0,1] neg_hi:[0,1]
	v_pk_add_f32 v[0:1], v[0:1], v[12:13] op_sel:[0,1] op_sel_hi:[1,0]
	v_pk_add_f32 v[12:13], v[28:29], v[22:23] op_sel:[0,1] op_sel_hi:[1,0] neg_lo:[0,1] neg_hi:[0,1]
	v_pk_add_f32 v[0:1], v[0:1], v[22:23] op_sel:[0,1] op_sel_hi:[1,0]
	v_mov_b32_e32 v22, v12
	v_mov_b32_e32 v23, v1
	v_pk_fma_f32 v[30:31], v[34:35], s[0:1], v[30:31] op_sel_hi:[1,0,1]
	v_pk_fma_f32 v[22:23], v[26:27], s[0:1], v[22:23] op_sel_hi:[1,0,1]
	ds_write2_b64 v52, v[30:31], v[22:23] offset0:110 offset1:165
	v_pk_add_f32 v[22:23], v[24:25], v[14:15]
	v_pk_add_f32 v[10:11], v[10:11], v[14:15] neg_lo:[0,1] neg_hi:[0,1]
	v_pk_fma_f32 v[6:7], v[22:23], 0.5, v[6:7] op_sel_hi:[1,0,1] neg_lo:[1,0,0] neg_hi:[1,0,0]
	v_pk_mul_f32 v[14:15], v[16:17], s[10:11] op_sel_hi:[1,0]
	v_pk_mul_f32 v[2:3], v[2:3], s[14:15] op_sel_hi:[1,0]
	v_pk_add_f32 v[16:17], v[6:7], v[14:15] op_sel:[0,1] op_sel_hi:[1,0]
	v_pk_add_f32 v[6:7], v[6:7], v[14:15] op_sel:[0,1] op_sel_hi:[1,0] neg_lo:[0,1] neg_hi:[0,1]
	v_pk_add_f32 v[20:21], v[20:21], v[24:25] neg_lo:[0,1] neg_hi:[0,1]
	v_pk_add_f32 v[6:7], v[6:7], v[2:3] op_sel:[0,1] op_sel_hi:[1,0]
	v_pk_add_f32 v[2:3], v[16:17], v[2:3] op_sel:[0,1] op_sel_hi:[1,0] neg_lo:[0,1] neg_hi:[0,1]
	v_pk_add_f32 v[10:11], v[20:21], v[10:11]
	v_mov_b32_e32 v14, v2
	v_mov_b32_e32 v15, v7
	;; [unrolled: 1-line block ×4, first 2 shown]
	v_pk_fma_f32 v[14:15], v[10:11], s[0:1], v[14:15] op_sel_hi:[1,0,1]
	v_pk_fma_f32 v[2:3], v[10:11], s[0:1], v[6:7] op_sel_hi:[1,0,1]
	;; [unrolled: 1-line block ×3, first 2 shown]
	ds_write2_b64 v33, v[18:19], v[14:15] offset0:92 offset1:147
	ds_write2_b64 v32, v[4:5], v[2:3] offset0:74 offset1:129
	;; [unrolled: 1-line block ×3, first 2 shown]
	s_waitcnt lgkmcnt(0)
	; wave barrier
	s_waitcnt lgkmcnt(0)
	s_and_b64 exec, exec, s[2:3]
	s_cbranch_execz .LBB0_15
; %bb.14:
	global_load_dwordx2 v[8:9], v52, s[8:9]
	global_load_dwordx2 v[10:11], v52, s[8:9] offset:400
	global_load_dwordx2 v[12:13], v52, s[8:9] offset:800
	;; [unrolled: 1-line block ×3, first 2 shown]
	ds_read_b64 v[16:17], v52
	global_load_dwordx2 v[20:21], v52, s[8:9] offset:1600
	ds_read2_b64 v[0:3], v52 offset0:50 offset1:100
	ds_read2_b64 v[4:7], v52 offset0:150 offset1:200
	global_load_dwordx2 v[26:27], v52, s[8:9] offset:2000
	global_load_dwordx2 v[28:29], v52, s[8:9] offset:2400
	v_mad_u64_u32 v[22:23], s[0:1], s6, v54, 0
	v_mad_u64_u32 v[24:25], s[2:3], s4, v55, 0
	v_mov_b32_e32 v30, v23
	v_mov_b32_e32 v34, v25
	v_mad_u64_u32 v[30:31], s[6:7], s7, v54, v[30:31]
	v_mad_u64_u32 v[34:35], s[6:7], s5, v55, v[34:35]
	v_mov_b32_e32 v25, v34
	v_mov_b32_e32 v18, s12
	;; [unrolled: 1-line block ×4, first 2 shown]
	v_lshl_add_u64 v[18:19], v[22:23], 3, v[18:19]
	v_mov_b32_e32 v38, 0x190
	v_lshl_add_u64 v[18:19], v[24:25], 3, v[18:19]
	s_mov_b32 s0, 0xdca01dca
	s_mul_i32 s2, s5, 0x190
	v_mad_u64_u32 v[22:23], s[6:7], s4, v38, v[18:19]
	s_mov_b32 s1, 0x3f5dca01
	v_add_u32_e32 v23, s2, v23
	v_mad_u64_u32 v[24:25], s[6:7], s4, v38, v[22:23]
	v_add_u32_e32 v25, s2, v25
	v_mad_u64_u32 v[30:31], s[6:7], s4, v38, v[24:25]
	v_add_u32_e32 v31, s2, v31
	s_waitcnt vmcnt(6) lgkmcnt(2)
	v_mul_f32_e32 v34, v17, v9
	v_mul_f32_e32 v9, v16, v9
	v_fmac_f32_e32 v34, v16, v8
	v_fma_f32 v16, v8, v17, -v9
	global_load_dwordx2 v[8:9], v52, s[8:9] offset:2800
	s_waitcnt vmcnt(5) lgkmcnt(1)
	v_mul_f32_e32 v36, v3, v13
	v_mul_f32_e32 v13, v2, v13
	s_waitcnt vmcnt(4) lgkmcnt(0)
	v_mul_f32_e32 v37, v5, v15
	v_mul_f32_e32 v15, v4, v15
	v_fmac_f32_e32 v36, v2, v12
	v_fma_f32 v17, v12, v3, -v13
	v_fmac_f32_e32 v37, v4, v14
	v_fma_f32 v39, v14, v5, -v15
	v_cvt_f64_f32_e32 v[2:3], v16
	v_cvt_f64_f32_e32 v[12:13], v36
	;; [unrolled: 1-line block ×4, first 2 shown]
	global_load_dwordx2 v[36:37], v52, s[8:9] offset:3200
	v_mul_f32_e32 v35, v1, v11
	v_mul_f32_e32 v11, v0, v11
	v_fmac_f32_e32 v35, v0, v10
	v_fma_f32 v10, v10, v1, -v11
	v_cvt_f64_f32_e32 v[0:1], v34
	v_cvt_f64_f32_e32 v[4:5], v35
	v_mul_f64 v[0:1], v[0:1], s[0:1]
	v_mul_f64 v[2:3], v[2:3], s[0:1]
	;; [unrolled: 1-line block ×4, first 2 shown]
	v_cvt_f64_f32_e32 v[10:11], v10
	v_cvt_f64_f32_e32 v[34:35], v39
	v_cvt_f32_f64_e32 v0, v[0:1]
	v_cvt_f32_f64_e32 v1, v[2:3]
	;; [unrolled: 1-line block ×4, first 2 shown]
	global_load_dwordx2 v[12:13], v52, s[8:9] offset:3600
	v_mul_f64 v[10:11], v[10:11], s[0:1]
	v_mul_f64 v[14:15], v[14:15], s[0:1]
	;; [unrolled: 1-line block ×4, first 2 shown]
	v_cvt_f32_f64_e32 v3, v[10:11]
	v_cvt_f32_f64_e32 v5, v[14:15]
	;; [unrolled: 1-line block ×4, first 2 shown]
	global_store_dwordx2 v[18:19], v[0:1], off
	global_store_dwordx2 v[22:23], v[2:3], off
	;; [unrolled: 1-line block ×4, first 2 shown]
	s_waitcnt vmcnt(9)
	v_mul_f32_e32 v0, v7, v21
	v_fmac_f32_e32 v0, v6, v20
	v_cvt_f64_f32_e32 v[0:1], v0
	v_mul_f64 v[0:1], v[0:1], s[0:1]
	v_cvt_f32_f64_e32 v4, v[0:1]
	v_mul_f32_e32 v0, v6, v21
	v_fma_f32 v0, v20, v7, -v0
	global_load_dwordx2 v[6:7], v52, s[8:9] offset:4000
	v_cvt_f64_f32_e32 v[0:1], v0
	v_mul_f64 v[0:1], v[0:1], s[0:1]
	v_cvt_f32_f64_e32 v5, v[0:1]
	ds_read2_b64 v[0:3], v33 offset0:122 offset1:172
	v_mad_u64_u32 v[10:11], s[6:7], s4, v38, v[30:31]
	v_add_u32_e32 v11, s2, v11
	global_store_dwordx2 v[10:11], v[4:5], off
	s_waitcnt vmcnt(10) lgkmcnt(0)
	v_mul_f32_e32 v4, v1, v27
	v_fmac_f32_e32 v4, v0, v26
	v_mul_f32_e32 v0, v0, v27
	v_fma_f32 v0, v26, v1, -v0
	v_cvt_f64_f32_e32 v[4:5], v4
	v_cvt_f64_f32_e32 v[0:1], v0
	v_mul_f64 v[4:5], v[4:5], s[0:1]
	v_mul_f64 v[0:1], v[0:1], s[0:1]
	v_cvt_f32_f64_e32 v4, v[4:5]
	v_cvt_f32_f64_e32 v5, v[0:1]
	s_waitcnt vmcnt(9)
	v_mul_f32_e32 v0, v3, v29
	v_fmac_f32_e32 v0, v2, v28
	v_mad_u64_u32 v[10:11], s[6:7], s4, v38, v[10:11]
	v_cvt_f64_f32_e32 v[0:1], v0
	v_add_u32_e32 v11, s2, v11
	v_mul_f64 v[0:1], v[0:1], s[0:1]
	global_store_dwordx2 v[10:11], v[4:5], off
	v_cvt_f32_f64_e32 v4, v[0:1]
	v_mul_f32_e32 v0, v2, v29
	v_fma_f32 v0, v28, v3, -v0
	v_cvt_f64_f32_e32 v[0:1], v0
	v_mul_f64 v[0:1], v[0:1], s[0:1]
	v_cvt_f32_f64_e32 v5, v[0:1]
	ds_read2_b64 v[0:3], v32 offset0:94 offset1:144
	v_mad_u64_u32 v[10:11], s[6:7], s4, v38, v[10:11]
	v_add_u32_e32 v11, s2, v11
	global_store_dwordx2 v[10:11], v[4:5], off
	s_waitcnt vmcnt(10) lgkmcnt(0)
	v_mul_f32_e32 v4, v1, v9
	v_fmac_f32_e32 v4, v0, v8
	v_mul_f32_e32 v0, v0, v9
	v_fma_f32 v0, v8, v1, -v0
	v_cvt_f64_f32_e32 v[4:5], v4
	v_cvt_f64_f32_e32 v[0:1], v0
	v_mul_f64 v[4:5], v[4:5], s[0:1]
	v_mul_f64 v[0:1], v[0:1], s[0:1]
	v_cvt_f32_f64_e32 v4, v[4:5]
	v_cvt_f32_f64_e32 v5, v[0:1]
	s_waitcnt vmcnt(9)
	v_mul_f32_e32 v0, v3, v37
	v_fmac_f32_e32 v0, v2, v36
	v_mad_u64_u32 v[8:9], s[6:7], s4, v38, v[10:11]
	v_cvt_f64_f32_e32 v[0:1], v0
	v_add_u32_e32 v9, s2, v9
	v_mul_f64 v[0:1], v[0:1], s[0:1]
	global_store_dwordx2 v[8:9], v[4:5], off
	v_cvt_f32_f64_e32 v4, v[0:1]
	v_mul_f32_e32 v0, v2, v37
	v_fma_f32 v0, v36, v3, -v0
	v_cvt_f64_f32_e32 v[0:1], v0
	v_mul_f64 v[0:1], v[0:1], s[0:1]
	v_cvt_f32_f64_e32 v5, v[0:1]
	ds_read2_b64 v[0:3], v32 offset0:194 offset1:244
	v_mad_u64_u32 v[8:9], s[6:7], s4, v38, v[8:9]
	v_add_u32_e32 v9, s2, v9
	global_store_dwordx2 v[8:9], v[4:5], off
	s_waitcnt vmcnt(10) lgkmcnt(0)
	v_mul_f32_e32 v4, v1, v13
	v_fmac_f32_e32 v4, v0, v12
	v_mul_f32_e32 v0, v0, v13
	v_fma_f32 v0, v12, v1, -v0
	v_cvt_f64_f32_e32 v[4:5], v4
	v_cvt_f64_f32_e32 v[0:1], v0
	v_mul_f64 v[4:5], v[4:5], s[0:1]
	v_mul_f64 v[0:1], v[0:1], s[0:1]
	v_cvt_f32_f64_e32 v4, v[4:5]
	v_cvt_f32_f64_e32 v5, v[0:1]
	v_mad_u64_u32 v[0:1], s[6:7], s4, v38, v[8:9]
	v_add_u32_e32 v1, s2, v1
	global_store_dwordx2 v[0:1], v[4:5], off
	s_waitcnt vmcnt(6)
	v_mul_f32_e32 v4, v3, v7
	v_fmac_f32_e32 v4, v2, v6
	v_mul_f32_e32 v2, v2, v7
	v_fma_f32 v2, v6, v3, -v2
	v_cvt_f64_f32_e32 v[4:5], v4
	v_cvt_f64_f32_e32 v[2:3], v2
	v_mul_f64 v[4:5], v[4:5], s[0:1]
	v_mul_f64 v[2:3], v[2:3], s[0:1]
	v_mad_u64_u32 v[0:1], s[0:1], s4, v38, v[0:1]
	v_cvt_f32_f64_e32 v4, v[4:5]
	v_cvt_f32_f64_e32 v5, v[2:3]
	v_add_u32_e32 v1, s2, v1
	global_store_dwordx2 v[0:1], v[4:5], off
.LBB0_15:
	s_endpgm
	.section	.rodata,"a",@progbits
	.p2align	6, 0x0
	.amdhsa_kernel bluestein_single_back_len550_dim1_sp_op_CI_CI
		.amdhsa_group_segment_fixed_size 4400
		.amdhsa_private_segment_fixed_size 0
		.amdhsa_kernarg_size 104
		.amdhsa_user_sgpr_count 2
		.amdhsa_user_sgpr_dispatch_ptr 0
		.amdhsa_user_sgpr_queue_ptr 0
		.amdhsa_user_sgpr_kernarg_segment_ptr 1
		.amdhsa_user_sgpr_dispatch_id 0
		.amdhsa_user_sgpr_kernarg_preload_length 0
		.amdhsa_user_sgpr_kernarg_preload_offset 0
		.amdhsa_user_sgpr_private_segment_size 0
		.amdhsa_uses_dynamic_stack 0
		.amdhsa_enable_private_segment 0
		.amdhsa_system_sgpr_workgroup_id_x 1
		.amdhsa_system_sgpr_workgroup_id_y 0
		.amdhsa_system_sgpr_workgroup_id_z 0
		.amdhsa_system_sgpr_workgroup_info 0
		.amdhsa_system_vgpr_workitem_id 0
		.amdhsa_next_free_vgpr 182
		.amdhsa_next_free_sgpr 38
		.amdhsa_accum_offset 184
		.amdhsa_reserve_vcc 1
		.amdhsa_float_round_mode_32 0
		.amdhsa_float_round_mode_16_64 0
		.amdhsa_float_denorm_mode_32 3
		.amdhsa_float_denorm_mode_16_64 3
		.amdhsa_dx10_clamp 1
		.amdhsa_ieee_mode 1
		.amdhsa_fp16_overflow 0
		.amdhsa_tg_split 0
		.amdhsa_exception_fp_ieee_invalid_op 0
		.amdhsa_exception_fp_denorm_src 0
		.amdhsa_exception_fp_ieee_div_zero 0
		.amdhsa_exception_fp_ieee_overflow 0
		.amdhsa_exception_fp_ieee_underflow 0
		.amdhsa_exception_fp_ieee_inexact 0
		.amdhsa_exception_int_div_zero 0
	.end_amdhsa_kernel
	.text
.Lfunc_end0:
	.size	bluestein_single_back_len550_dim1_sp_op_CI_CI, .Lfunc_end0-bluestein_single_back_len550_dim1_sp_op_CI_CI
                                        ; -- End function
	.section	.AMDGPU.csdata,"",@progbits
; Kernel info:
; codeLenInByte = 10536
; NumSgprs: 44
; NumVgprs: 182
; NumAgprs: 0
; TotalNumVgprs: 182
; ScratchSize: 0
; MemoryBound: 0
; FloatMode: 240
; IeeeMode: 1
; LDSByteSize: 4400 bytes/workgroup (compile time only)
; SGPRBlocks: 5
; VGPRBlocks: 22
; NumSGPRsForWavesPerEU: 44
; NumVGPRsForWavesPerEU: 182
; AccumOffset: 184
; Occupancy: 2
; WaveLimiterHint : 1
; COMPUTE_PGM_RSRC2:SCRATCH_EN: 0
; COMPUTE_PGM_RSRC2:USER_SGPR: 2
; COMPUTE_PGM_RSRC2:TRAP_HANDLER: 0
; COMPUTE_PGM_RSRC2:TGID_X_EN: 1
; COMPUTE_PGM_RSRC2:TGID_Y_EN: 0
; COMPUTE_PGM_RSRC2:TGID_Z_EN: 0
; COMPUTE_PGM_RSRC2:TIDIG_COMP_CNT: 0
; COMPUTE_PGM_RSRC3_GFX90A:ACCUM_OFFSET: 45
; COMPUTE_PGM_RSRC3_GFX90A:TG_SPLIT: 0
	.text
	.p2alignl 6, 3212836864
	.fill 256, 4, 3212836864
	.type	__hip_cuid_436455fb57858b0,@object ; @__hip_cuid_436455fb57858b0
	.section	.bss,"aw",@nobits
	.globl	__hip_cuid_436455fb57858b0
__hip_cuid_436455fb57858b0:
	.byte	0                               ; 0x0
	.size	__hip_cuid_436455fb57858b0, 1

	.ident	"AMD clang version 19.0.0git (https://github.com/RadeonOpenCompute/llvm-project roc-6.4.0 25133 c7fe45cf4b819c5991fe208aaa96edf142730f1d)"
	.section	".note.GNU-stack","",@progbits
	.addrsig
	.addrsig_sym __hip_cuid_436455fb57858b0
	.amdgpu_metadata
---
amdhsa.kernels:
  - .agpr_count:     0
    .args:
      - .actual_access:  read_only
        .address_space:  global
        .offset:         0
        .size:           8
        .value_kind:     global_buffer
      - .actual_access:  read_only
        .address_space:  global
        .offset:         8
        .size:           8
        .value_kind:     global_buffer
      - .actual_access:  read_only
        .address_space:  global
        .offset:         16
        .size:           8
        .value_kind:     global_buffer
      - .actual_access:  read_only
        .address_space:  global
        .offset:         24
        .size:           8
        .value_kind:     global_buffer
      - .actual_access:  read_only
        .address_space:  global
        .offset:         32
        .size:           8
        .value_kind:     global_buffer
      - .offset:         40
        .size:           8
        .value_kind:     by_value
      - .address_space:  global
        .offset:         48
        .size:           8
        .value_kind:     global_buffer
      - .address_space:  global
        .offset:         56
        .size:           8
        .value_kind:     global_buffer
      - .address_space:  global
        .offset:         64
        .size:           8
        .value_kind:     global_buffer
      - .address_space:  global
        .offset:         72
        .size:           8
        .value_kind:     global_buffer
      - .offset:         80
        .size:           4
        .value_kind:     by_value
      - .address_space:  global
        .offset:         88
        .size:           8
        .value_kind:     global_buffer
      - .address_space:  global
        .offset:         96
        .size:           8
        .value_kind:     global_buffer
    .group_segment_fixed_size: 4400
    .kernarg_segment_align: 8
    .kernarg_segment_size: 104
    .language:       OpenCL C
    .language_version:
      - 2
      - 0
    .max_flat_workgroup_size: 55
    .name:           bluestein_single_back_len550_dim1_sp_op_CI_CI
    .private_segment_fixed_size: 0
    .sgpr_count:     44
    .sgpr_spill_count: 0
    .symbol:         bluestein_single_back_len550_dim1_sp_op_CI_CI.kd
    .uniform_work_group_size: 1
    .uses_dynamic_stack: false
    .vgpr_count:     182
    .vgpr_spill_count: 0
    .wavefront_size: 64
amdhsa.target:   amdgcn-amd-amdhsa--gfx950
amdhsa.version:
  - 1
  - 2
...

	.end_amdgpu_metadata
